;; amdgpu-corpus repo=ROCm/rocFFT kind=compiled arch=gfx1201 opt=O3
	.text
	.amdgcn_target "amdgcn-amd-amdhsa--gfx1201"
	.amdhsa_code_object_version 6
	.protected	fft_rtc_fwd_len1122_factors_17_11_6_wgs_204_tpt_102_halfLds_sp_ip_CI_unitstride_sbrr_R2C_dirReg ; -- Begin function fft_rtc_fwd_len1122_factors_17_11_6_wgs_204_tpt_102_halfLds_sp_ip_CI_unitstride_sbrr_R2C_dirReg
	.globl	fft_rtc_fwd_len1122_factors_17_11_6_wgs_204_tpt_102_halfLds_sp_ip_CI_unitstride_sbrr_R2C_dirReg
	.p2align	8
	.type	fft_rtc_fwd_len1122_factors_17_11_6_wgs_204_tpt_102_halfLds_sp_ip_CI_unitstride_sbrr_R2C_dirReg,@function
fft_rtc_fwd_len1122_factors_17_11_6_wgs_204_tpt_102_halfLds_sp_ip_CI_unitstride_sbrr_R2C_dirReg: ; @fft_rtc_fwd_len1122_factors_17_11_6_wgs_204_tpt_102_halfLds_sp_ip_CI_unitstride_sbrr_R2C_dirReg
; %bb.0:
	s_clause 0x2
	s_load_b128 s[4:7], s[0:1], 0x0
	s_load_b64 s[8:9], s[0:1], 0x50
	s_load_b64 s[10:11], s[0:1], 0x18
	v_mul_u32_u24_e32 v1, 0x283, v0
	v_mov_b32_e32 v3, 0
	s_delay_alu instid0(VALU_DEP_2) | instskip(SKIP_2) | instid1(VALU_DEP_4)
	v_lshrrev_b32_e32 v9, 16, v1
	v_mov_b32_e32 v1, 0
	v_mov_b32_e32 v2, 0
	;; [unrolled: 1-line block ×3, first 2 shown]
	s_delay_alu instid0(VALU_DEP_4) | instskip(SKIP_2) | instid1(VALU_DEP_1)
	v_lshl_add_u32 v5, ttmp9, 1, v9
	s_wait_kmcnt 0x0
	v_cmp_lt_u64_e64 s2, s[6:7], 2
	s_and_b32 vcc_lo, exec_lo, s2
	s_cbranch_vccnz .LBB0_8
; %bb.1:
	s_load_b64 s[2:3], s[0:1], 0x10
	v_mov_b32_e32 v1, 0
	v_mov_b32_e32 v2, 0
	s_add_nc_u64 s[12:13], s[10:11], 8
	s_mov_b64 s[14:15], 1
	s_wait_kmcnt 0x0
	s_add_nc_u64 s[16:17], s[2:3], 8
	s_mov_b32 s3, 0
.LBB0_2:                                ; =>This Inner Loop Header: Depth=1
	s_load_b64 s[18:19], s[16:17], 0x0
                                        ; implicit-def: $vgpr7_vgpr8
	s_mov_b32 s2, exec_lo
	s_wait_kmcnt 0x0
	v_or_b32_e32 v4, s19, v6
	s_delay_alu instid0(VALU_DEP_1)
	v_cmpx_ne_u64_e32 0, v[3:4]
	s_wait_alu 0xfffe
	s_xor_b32 s20, exec_lo, s2
	s_cbranch_execz .LBB0_4
; %bb.3:                                ;   in Loop: Header=BB0_2 Depth=1
	s_cvt_f32_u32 s2, s18
	s_cvt_f32_u32 s21, s19
	s_sub_nc_u64 s[24:25], 0, s[18:19]
	s_wait_alu 0xfffe
	s_delay_alu instid0(SALU_CYCLE_1) | instskip(SKIP_1) | instid1(SALU_CYCLE_2)
	s_fmamk_f32 s2, s21, 0x4f800000, s2
	s_wait_alu 0xfffe
	v_s_rcp_f32 s2, s2
	s_delay_alu instid0(TRANS32_DEP_1) | instskip(SKIP_1) | instid1(SALU_CYCLE_2)
	s_mul_f32 s2, s2, 0x5f7ffffc
	s_wait_alu 0xfffe
	s_mul_f32 s21, s2, 0x2f800000
	s_wait_alu 0xfffe
	s_delay_alu instid0(SALU_CYCLE_2) | instskip(SKIP_1) | instid1(SALU_CYCLE_2)
	s_trunc_f32 s21, s21
	s_wait_alu 0xfffe
	s_fmamk_f32 s2, s21, 0xcf800000, s2
	s_cvt_u32_f32 s23, s21
	s_wait_alu 0xfffe
	s_delay_alu instid0(SALU_CYCLE_1) | instskip(SKIP_1) | instid1(SALU_CYCLE_2)
	s_cvt_u32_f32 s22, s2
	s_wait_alu 0xfffe
	s_mul_u64 s[26:27], s[24:25], s[22:23]
	s_wait_alu 0xfffe
	s_mul_hi_u32 s29, s22, s27
	s_mul_i32 s28, s22, s27
	s_mul_hi_u32 s2, s22, s26
	s_mul_i32 s30, s23, s26
	s_wait_alu 0xfffe
	s_add_nc_u64 s[28:29], s[2:3], s[28:29]
	s_mul_hi_u32 s21, s23, s26
	s_mul_hi_u32 s31, s23, s27
	s_add_co_u32 s2, s28, s30
	s_wait_alu 0xfffe
	s_add_co_ci_u32 s2, s29, s21
	s_mul_i32 s26, s23, s27
	s_add_co_ci_u32 s27, s31, 0
	s_wait_alu 0xfffe
	s_add_nc_u64 s[26:27], s[2:3], s[26:27]
	s_wait_alu 0xfffe
	v_add_co_u32 v4, s2, s22, s26
	s_delay_alu instid0(VALU_DEP_1) | instskip(SKIP_1) | instid1(VALU_DEP_1)
	s_cmp_lg_u32 s2, 0
	s_add_co_ci_u32 s23, s23, s27
	v_readfirstlane_b32 s22, v4
	s_wait_alu 0xfffe
	s_delay_alu instid0(VALU_DEP_1)
	s_mul_u64 s[24:25], s[24:25], s[22:23]
	s_wait_alu 0xfffe
	s_mul_hi_u32 s27, s22, s25
	s_mul_i32 s26, s22, s25
	s_mul_hi_u32 s2, s22, s24
	s_mul_i32 s28, s23, s24
	s_wait_alu 0xfffe
	s_add_nc_u64 s[26:27], s[2:3], s[26:27]
	s_mul_hi_u32 s21, s23, s24
	s_mul_hi_u32 s22, s23, s25
	s_wait_alu 0xfffe
	s_add_co_u32 s2, s26, s28
	s_add_co_ci_u32 s2, s27, s21
	s_mul_i32 s24, s23, s25
	s_add_co_ci_u32 s25, s22, 0
	s_wait_alu 0xfffe
	s_add_nc_u64 s[24:25], s[2:3], s[24:25]
	s_wait_alu 0xfffe
	v_add_co_u32 v4, s2, v4, s24
	s_delay_alu instid0(VALU_DEP_1) | instskip(SKIP_1) | instid1(VALU_DEP_1)
	s_cmp_lg_u32 s2, 0
	s_add_co_ci_u32 s2, s23, s25
	v_mul_hi_u32 v14, v5, v4
	s_wait_alu 0xfffe
	v_mad_co_u64_u32 v[7:8], null, v5, s2, 0
	v_mad_co_u64_u32 v[10:11], null, v6, v4, 0
	;; [unrolled: 1-line block ×3, first 2 shown]
	s_delay_alu instid0(VALU_DEP_3) | instskip(SKIP_1) | instid1(VALU_DEP_4)
	v_add_co_u32 v4, vcc_lo, v14, v7
	s_wait_alu 0xfffd
	v_add_co_ci_u32_e32 v7, vcc_lo, 0, v8, vcc_lo
	s_delay_alu instid0(VALU_DEP_2) | instskip(SKIP_1) | instid1(VALU_DEP_2)
	v_add_co_u32 v4, vcc_lo, v4, v10
	s_wait_alu 0xfffd
	v_add_co_ci_u32_e32 v4, vcc_lo, v7, v11, vcc_lo
	s_wait_alu 0xfffd
	v_add_co_ci_u32_e32 v7, vcc_lo, 0, v13, vcc_lo
	s_delay_alu instid0(VALU_DEP_2) | instskip(SKIP_1) | instid1(VALU_DEP_2)
	v_add_co_u32 v4, vcc_lo, v4, v12
	s_wait_alu 0xfffd
	v_add_co_ci_u32_e32 v10, vcc_lo, 0, v7, vcc_lo
	s_delay_alu instid0(VALU_DEP_2) | instskip(SKIP_1) | instid1(VALU_DEP_3)
	v_mul_lo_u32 v11, s19, v4
	v_mad_co_u64_u32 v[7:8], null, s18, v4, 0
	v_mul_lo_u32 v12, s18, v10
	s_delay_alu instid0(VALU_DEP_2) | instskip(NEXT) | instid1(VALU_DEP_2)
	v_sub_co_u32 v7, vcc_lo, v5, v7
	v_add3_u32 v8, v8, v12, v11
	s_delay_alu instid0(VALU_DEP_1) | instskip(SKIP_1) | instid1(VALU_DEP_1)
	v_sub_nc_u32_e32 v11, v6, v8
	s_wait_alu 0xfffd
	v_subrev_co_ci_u32_e64 v11, s2, s19, v11, vcc_lo
	v_add_co_u32 v12, s2, v4, 2
	s_wait_alu 0xf1ff
	v_add_co_ci_u32_e64 v13, s2, 0, v10, s2
	v_sub_co_u32 v14, s2, v7, s18
	v_sub_co_ci_u32_e32 v8, vcc_lo, v6, v8, vcc_lo
	s_wait_alu 0xf1ff
	v_subrev_co_ci_u32_e64 v11, s2, 0, v11, s2
	s_delay_alu instid0(VALU_DEP_3) | instskip(NEXT) | instid1(VALU_DEP_3)
	v_cmp_le_u32_e32 vcc_lo, s18, v14
	v_cmp_eq_u32_e64 s2, s19, v8
	s_wait_alu 0xfffd
	v_cndmask_b32_e64 v14, 0, -1, vcc_lo
	v_cmp_le_u32_e32 vcc_lo, s19, v11
	s_wait_alu 0xfffd
	v_cndmask_b32_e64 v15, 0, -1, vcc_lo
	v_cmp_le_u32_e32 vcc_lo, s18, v7
	;; [unrolled: 3-line block ×3, first 2 shown]
	s_wait_alu 0xfffd
	v_cndmask_b32_e64 v16, 0, -1, vcc_lo
	v_cmp_eq_u32_e32 vcc_lo, s19, v11
	s_wait_alu 0xf1ff
	s_delay_alu instid0(VALU_DEP_2)
	v_cndmask_b32_e64 v7, v16, v7, s2
	s_wait_alu 0xfffd
	v_cndmask_b32_e32 v11, v15, v14, vcc_lo
	v_add_co_u32 v14, vcc_lo, v4, 1
	s_wait_alu 0xfffd
	v_add_co_ci_u32_e32 v15, vcc_lo, 0, v10, vcc_lo
	s_delay_alu instid0(VALU_DEP_3) | instskip(SKIP_1) | instid1(VALU_DEP_2)
	v_cmp_ne_u32_e32 vcc_lo, 0, v11
	s_wait_alu 0xfffd
	v_dual_cndmask_b32 v8, v15, v13 :: v_dual_cndmask_b32 v11, v14, v12
	v_cmp_ne_u32_e32 vcc_lo, 0, v7
	s_wait_alu 0xfffd
	s_delay_alu instid0(VALU_DEP_2)
	v_dual_cndmask_b32 v8, v10, v8 :: v_dual_cndmask_b32 v7, v4, v11
.LBB0_4:                                ;   in Loop: Header=BB0_2 Depth=1
	s_wait_alu 0xfffe
	s_and_not1_saveexec_b32 s2, s20
	s_cbranch_execz .LBB0_6
; %bb.5:                                ;   in Loop: Header=BB0_2 Depth=1
	v_cvt_f32_u32_e32 v4, s18
	s_sub_co_i32 s20, 0, s18
	s_delay_alu instid0(VALU_DEP_1) | instskip(NEXT) | instid1(TRANS32_DEP_1)
	v_rcp_iflag_f32_e32 v4, v4
	v_mul_f32_e32 v4, 0x4f7ffffe, v4
	s_delay_alu instid0(VALU_DEP_1) | instskip(SKIP_1) | instid1(VALU_DEP_1)
	v_cvt_u32_f32_e32 v4, v4
	s_wait_alu 0xfffe
	v_mul_lo_u32 v7, s20, v4
	s_delay_alu instid0(VALU_DEP_1) | instskip(NEXT) | instid1(VALU_DEP_1)
	v_mul_hi_u32 v7, v4, v7
	v_add_nc_u32_e32 v4, v4, v7
	s_delay_alu instid0(VALU_DEP_1) | instskip(NEXT) | instid1(VALU_DEP_1)
	v_mul_hi_u32 v4, v5, v4
	v_mul_lo_u32 v7, v4, s18
	v_add_nc_u32_e32 v8, 1, v4
	s_delay_alu instid0(VALU_DEP_2) | instskip(NEXT) | instid1(VALU_DEP_1)
	v_sub_nc_u32_e32 v7, v5, v7
	v_subrev_nc_u32_e32 v10, s18, v7
	v_cmp_le_u32_e32 vcc_lo, s18, v7
	s_wait_alu 0xfffd
	s_delay_alu instid0(VALU_DEP_2) | instskip(NEXT) | instid1(VALU_DEP_1)
	v_dual_cndmask_b32 v7, v7, v10 :: v_dual_cndmask_b32 v4, v4, v8
	v_cmp_le_u32_e32 vcc_lo, s18, v7
	s_delay_alu instid0(VALU_DEP_2) | instskip(SKIP_1) | instid1(VALU_DEP_1)
	v_add_nc_u32_e32 v8, 1, v4
	s_wait_alu 0xfffd
	v_dual_cndmask_b32 v7, v4, v8 :: v_dual_mov_b32 v8, v3
.LBB0_6:                                ;   in Loop: Header=BB0_2 Depth=1
	s_wait_alu 0xfffe
	s_or_b32 exec_lo, exec_lo, s2
	s_load_b64 s[20:21], s[12:13], 0x0
	s_delay_alu instid0(VALU_DEP_1)
	v_mul_lo_u32 v4, v8, s18
	v_mul_lo_u32 v12, v7, s19
	v_mad_co_u64_u32 v[10:11], null, v7, s18, 0
	s_add_nc_u64 s[14:15], s[14:15], 1
	s_add_nc_u64 s[12:13], s[12:13], 8
	s_wait_alu 0xfffe
	v_cmp_ge_u64_e64 s2, s[14:15], s[6:7]
	s_add_nc_u64 s[16:17], s[16:17], 8
	s_delay_alu instid0(VALU_DEP_2) | instskip(NEXT) | instid1(VALU_DEP_3)
	v_add3_u32 v4, v11, v12, v4
	v_sub_co_u32 v5, vcc_lo, v5, v10
	s_wait_alu 0xfffd
	s_delay_alu instid0(VALU_DEP_2) | instskip(SKIP_3) | instid1(VALU_DEP_2)
	v_sub_co_ci_u32_e32 v4, vcc_lo, v6, v4, vcc_lo
	s_and_b32 vcc_lo, exec_lo, s2
	s_wait_kmcnt 0x0
	v_mul_lo_u32 v6, s21, v5
	v_mul_lo_u32 v4, s20, v4
	v_mad_co_u64_u32 v[1:2], null, s20, v5, v[1:2]
	s_delay_alu instid0(VALU_DEP_1)
	v_add3_u32 v2, v6, v2, v4
	s_wait_alu 0xfffe
	s_cbranch_vccnz .LBB0_9
; %bb.7:                                ;   in Loop: Header=BB0_2 Depth=1
	v_dual_mov_b32 v5, v7 :: v_dual_mov_b32 v6, v8
	s_branch .LBB0_2
.LBB0_8:
	v_dual_mov_b32 v8, v6 :: v_dual_mov_b32 v7, v5
.LBB0_9:
	s_lshl_b64 s[2:3], s[6:7], 3
	v_mul_hi_u32 v3, 0x2828283, v0
	s_wait_alu 0xfffe
	s_add_nc_u64 s[2:3], s[10:11], s[2:3]
	v_and_b32_e32 v6, 1, v9
	s_load_b64 s[2:3], s[2:3], 0x0
	s_load_b64 s[0:1], s[0:1], 0x20
	s_delay_alu instid0(VALU_DEP_1) | instskip(NEXT) | instid1(VALU_DEP_3)
	v_cmp_eq_u32_e32 vcc_lo, 1, v6
	v_mul_u32_u24_e32 v3, 0x66, v3
	s_delay_alu instid0(VALU_DEP_1) | instskip(NEXT) | instid1(VALU_DEP_1)
	v_sub_nc_u32_e32 v36, v0, v3
	v_lshlrev_b32_e32 v43, 3, v36
	s_wait_kmcnt 0x0
	v_mul_lo_u32 v4, s2, v8
	v_mul_lo_u32 v5, s3, v7
	v_mad_co_u64_u32 v[1:2], null, s2, v7, v[1:2]
	s_delay_alu instid0(VALU_DEP_1) | instskip(SKIP_3) | instid1(VALU_DEP_3)
	v_add3_u32 v2, v5, v2, v4
	s_wait_alu 0xfffd
	v_cndmask_b32_e64 v4, 0, 0x463, vcc_lo
	v_cmp_gt_u64_e32 vcc_lo, s[0:1], v[7:8]
	v_lshlrev_b64_e32 v[38:39], 3, v[1:2]
	s_delay_alu instid0(VALU_DEP_3)
	v_lshlrev_b32_e32 v47, 3, v4
	s_and_saveexec_b32 s1, vcc_lo
	s_cbranch_execz .LBB0_11
; %bb.10:
	s_delay_alu instid0(VALU_DEP_1)
	v_add3_u32 v22, 0, v47, v43
	v_mov_b32_e32 v37, 0
	v_add_co_u32 v2, s0, s8, v38
	s_wait_alu 0xf1ff
	v_add_co_ci_u32_e64 v3, s0, s9, v39, s0
	v_add_nc_u32_e32 v24, 0x800, v22
	v_lshlrev_b64_e32 v[0:1], 3, v[36:37]
	v_add_nc_u32_e32 v23, 0x400, v22
	v_add_nc_u32_e32 v25, 0x1000, v22
	;; [unrolled: 1-line block ×3, first 2 shown]
	s_delay_alu instid0(VALU_DEP_4)
	v_add_co_u32 v0, s0, v2, v0
	s_wait_alu 0xf1ff
	v_add_co_ci_u32_e64 v1, s0, v3, v1, s0
	s_clause 0xa
	global_load_b64 v[2:3], v[0:1], off
	global_load_b64 v[4:5], v[0:1], off offset:816
	global_load_b64 v[6:7], v[0:1], off offset:1632
	;; [unrolled: 1-line block ×10, first 2 shown]
	s_wait_loadcnt 0x9
	ds_store_2addr_b64 v22, v[2:3], v[4:5] offset1:102
	s_wait_loadcnt 0x7
	ds_store_2addr_b64 v23, v[6:7], v[8:9] offset0:76 offset1:178
	s_wait_loadcnt 0x5
	ds_store_2addr_b64 v24, v[10:11], v[12:13] offset0:152 offset1:254
	;; [unrolled: 2-line block ×4, first 2 shown]
	s_wait_loadcnt 0x0
	ds_store_b64 v22, v[0:1] offset:8160
.LBB0_11:
	s_wait_alu 0xfffe
	s_or_b32 exec_lo, exec_lo, s1
	v_add3_u32 v44, 0, v43, v47
	global_wb scope:SCOPE_SE
	s_wait_dscnt 0x0
	s_barrier_signal -1
	s_barrier_wait -1
	global_inv scope:SCOPE_SE
	v_add_nc_u32_e32 v0, 0x1c00, v44
	s_mov_b32 s1, exec_lo
	ds_load_2addr_b64 v[32:35], v44 offset0:66 offset1:132
	ds_load_2addr_b64 v[4:7], v0 offset0:94 offset1:160
	v_add_nc_u32_e32 v45, 0x400, v44
	v_add_nc_u32_e32 v48, 0x1800, v44
	;; [unrolled: 1-line block ×3, first 2 shown]
	s_wait_dscnt 0x0
	v_dual_add_f32 v54, v5, v35 :: v_dual_add_nc_u32 v49, 0xc00, v44
	v_dual_sub_f32 v72, v32, v6 :: v_dual_sub_f32 v67, v33, v7
	ds_load_2addr_b64 v[28:31], v45 offset0:70 offset1:136
	ds_load_2addr_b64 v[8:11], v48 offset0:90 offset1:156
	v_dual_add_f32 v57, v7, v33 :: v_dual_add_f32 v52, v4, v34
	v_mul_f32_e32 v106, 0xbf4c4adb, v72
	v_dual_add_f32 v51, v6, v32 :: v_dual_add_nc_u32 v42, v37, v43
	v_add_nc_u32_e32 v50, 0x800, v44
	v_add_nc_u32_e32 v46, 0x1000, v44
	s_delay_alu instid0(VALU_DEP_4)
	v_fma_f32 v3, 0xbf1a4643, v57, -v106
	v_add_nc_u32_e32 v2, 0x1400, v44
	s_wait_dscnt 0x0
	v_dual_sub_f32 v68, v35, v5 :: v_dual_add_f32 v53, v10, v28
	v_add_f32_e32 v55, v11, v29
	v_sub_f32_e32 v69, v29, v11
	ds_load_b64 v[0:1], v42
	ds_load_2addr_b64 v[24:27], v50 offset0:74 offset1:140
	ds_load_2addr_b64 v[20:23], v49 offset0:78 offset1:144
	;; [unrolled: 1-line block ×4, first 2 shown]
	v_sub_f32_e32 v74, v34, v4
	v_dual_sub_f32 v76, v28, v10 :: v_dual_sub_f32 v79, v30, v8
	v_mul_f32_e32 v41, 0xbeb8f4ab, v69
	v_mul_f32_e32 v40, 0xbf4c4adb, v67
	s_delay_alu instid0(VALU_DEP_4) | instskip(NEXT) | instid1(VALU_DEP_4)
	v_mul_f32_e32 v124, 0x3f763a35, v74
	v_mul_f32_e32 v118, 0xbeb8f4ab, v76
	;; [unrolled: 1-line block ×3, first 2 shown]
	global_wb scope:SCOPE_SE
	s_wait_dscnt 0x0
	s_barrier_signal -1
	s_barrier_wait -1
	v_fma_f32 v61, 0x3f6eb680, v55, -v118
	global_inv scope:SCOPE_SE
	v_add_f32_e32 v3, v1, v3
	v_dual_sub_f32 v78, v21, v19 :: v_dual_sub_f32 v75, v23, v17
	v_sub_f32_e32 v71, v27, v13
	v_fma_f32 v59, 0xbe8c1d8e, v54, -v124
	v_add_f32_e32 v56, v8, v30
	v_dual_sub_f32 v81, v24, v14 :: v_dual_fmamk_f32 v2, v51, 0xbf1a4643, v40
	v_sub_f32_e32 v73, v25, v15
	s_delay_alu instid0(VALU_DEP_4) | instskip(SKIP_1) | instid1(VALU_DEP_3)
	v_add_f32_e32 v3, v59, v3
	v_dual_add_f32 v59, v14, v24 :: v_dual_sub_f32 v70, v31, v9
	v_dual_add_f32 v2, v0, v2 :: v_dual_mul_f32 v117, 0x3f7ee86f, v73
	s_delay_alu instid0(VALU_DEP_3) | instskip(NEXT) | instid1(VALU_DEP_3)
	v_dual_add_f32 v3, v61, v3 :: v_dual_mul_f32 v112, 0x3f763a35, v68
	v_mul_f32_e32 v111, 0xbf06c442, v70
	v_dual_sub_f32 v83, v26, v12 :: v_dual_sub_f32 v80, v20, v18
	v_mul_f32_e32 v123, 0x3f65296c, v75
	s_delay_alu instid0(VALU_DEP_4) | instskip(SKIP_2) | instid1(VALU_DEP_3)
	v_fmamk_f32 v58, v52, 0xbe8c1d8e, v112
	v_dual_add_f32 v64, v19, v21 :: v_dual_sub_f32 v77, v22, v16
	v_mul_f32_e32 v119, 0xbf2c7751, v71
	v_dual_mul_f32 v125, 0xbf2c7751, v83 :: v_dual_add_f32 v2, v58, v2
	v_dual_add_f32 v58, v9, v31 :: v_dual_fmamk_f32 v61, v56, 0xbf59a7d5, v111
	s_delay_alu instid0(VALU_DEP_4) | instskip(SKIP_2) | instid1(VALU_DEP_4)
	v_mul_f32_e32 v126, 0x3f65296c, v77
	v_mul_f32_e32 v127, 0xbe3c28d5, v80
	;; [unrolled: 1-line block ×3, first 2 shown]
	v_fma_f32 v62, 0xbf59a7d5, v58, -v120
	s_delay_alu instid0(VALU_DEP_1) | instskip(SKIP_1) | instid1(VALU_DEP_2)
	v_dual_add_f32 v3, v62, v3 :: v_dual_fmamk_f32 v60, v53, 0x3f6eb680, v41
	v_fmamk_f32 v62, v59, 0x3dbcf732, v117
	v_add_f32_e32 v2, v60, v2
	v_add_f32_e32 v60, v15, v25
	s_delay_alu instid0(VALU_DEP_2) | instskip(SKIP_1) | instid1(VALU_DEP_1)
	v_add_f32_e32 v2, v61, v2
	v_add_f32_e32 v61, v12, v26
	v_dual_add_f32 v2, v62, v2 :: v_dual_fmamk_f32 v65, v61, 0x3f3d2fb0, v119
	v_add_f32_e32 v62, v13, v27
	s_delay_alu instid0(VALU_DEP_1) | instskip(SKIP_1) | instid1(VALU_DEP_1)
	v_fma_f32 v66, 0x3f3d2fb0, v62, -v125
	v_mul_f32_e32 v122, 0x3f7ee86f, v81
	v_fma_f32 v63, 0x3dbcf732, v60, -v122
	s_delay_alu instid0(VALU_DEP_1) | instskip(SKIP_1) | instid1(VALU_DEP_2)
	v_add_f32_e32 v3, v63, v3
	v_add_f32_e32 v63, v18, v20
	v_dual_add_f32 v3, v66, v3 :: v_dual_add_f32 v2, v65, v2
	v_add_f32_e32 v65, v16, v22
	v_fma_f32 v84, 0xbf7ba420, v64, -v127
	v_add_f32_e32 v66, v17, v23
	s_delay_alu instid0(VALU_DEP_2) | instskip(NEXT) | instid1(VALU_DEP_2)
	v_add_f32_e32 v3, v84, v3
	v_fma_f32 v84, 0x3ee437d1, v66, -v126
	s_delay_alu instid0(VALU_DEP_1) | instskip(NEXT) | instid1(VALU_DEP_1)
	v_dual_fmamk_f32 v82, v63, 0xbf7ba420, v121 :: v_dual_add_f32 v3, v84, v3
	v_add_f32_e32 v2, v82, v2
	v_fmamk_f32 v82, v65, 0x3ee437d1, v123
	s_delay_alu instid0(VALU_DEP_1)
	v_add_f32_e32 v2, v82, v2
	v_cmpx_gt_u32_e32 0x42, v36
	s_cbranch_execz .LBB0_13
; %bb.12:
	v_mul_f32_e32 v99, 0xbf06c442, v72
	v_dual_mul_f32 v97, 0xbf06c442, v76 :: v_dual_mul_f32 v88, 0xbf06c442, v69
	v_dual_mul_f32 v96, 0x3f2c7751, v79 :: v_dual_add_f32 v33, v1, v33
	v_dual_add_f32 v32, v0, v32 :: v_dual_mul_f32 v113, 0xbeb8f4ab, v81
	s_delay_alu instid0(VALU_DEP_4) | instskip(NEXT) | instid1(VALU_DEP_4)
	v_fmamk_f32 v102, v57, 0xbf59a7d5, v99
	v_fmamk_f32 v86, v55, 0xbf59a7d5, v97
	v_mul_f32_e32 v101, 0xbe3c28d5, v72
	s_delay_alu instid0(VALU_DEP_4) | instskip(NEXT) | instid1(VALU_DEP_4)
	v_add_f32_e32 v129, v32, v34
	v_dual_fmamk_f32 v89, v58, 0x3f3d2fb0, v96 :: v_dual_add_f32 v102, v1, v102
	v_mul_f32_e32 v95, 0xbe3c28d5, v67
	v_fma_f32 v100, 0xbf59a7d5, v53, -v88
	v_mul_f32_e32 v92, 0x3eb8f4ab, v68
	v_dual_mul_f32 v90, 0x3f65296c, v83 :: v_dual_mul_f32 v115, 0x3f65296c, v68
	s_delay_alu instid0(VALU_DEP_4) | instskip(SKIP_1) | instid1(VALU_DEP_4)
	v_fma_f32 v87, 0xbf7ba420, v51, -v95
	v_fmamk_f32 v84, v57, 0xbf7ba420, v101
	v_fma_f32 v93, 0x3f6eb680, v52, -v92
	v_mul_f32_e32 v116, 0xbf7ee86f, v69
	v_add_f32_e32 v128, v33, v35
	v_add_f32_e32 v87, v0, v87
	v_dual_mul_f32 v91, 0xbf4c4adb, v81 :: v_dual_add_f32 v84, v1, v84
	v_mul_f32_e32 v98, 0x3eb8f4ab, v74
	s_delay_alu instid0(VALU_DEP_3) | instskip(NEXT) | instid1(VALU_DEP_3)
	v_dual_mul_f32 v82, 0xbf763a35, v80 :: v_dual_add_f32 v87, v93, v87
	v_fmamk_f32 v94, v60, 0xbf1a4643, v91
	v_fma_f32 v34, 0x3dbcf732, v53, -v116
	s_delay_alu instid0(VALU_DEP_4) | instskip(SKIP_3) | instid1(VALU_DEP_4)
	v_fmamk_f32 v85, v54, 0x3f6eb680, v98
	v_mul_f32_e32 v114, 0xbf06c442, v67
	v_dual_add_f32 v87, v100, v87 :: v_dual_mul_f32 v100, 0x3f65296c, v74
	v_add_f32_e32 v28, v129, v28
	v_dual_add_f32 v85, v85, v84 :: v_dual_mul_f32 v84, 0x3f2c7751, v70
	s_delay_alu instid0(VALU_DEP_4) | instskip(NEXT) | instid1(VALU_DEP_4)
	v_fma_f32 v107, 0xbf59a7d5, v51, -v114
	v_fmamk_f32 v104, v54, 0x3ee437d1, v100
	v_dual_mul_f32 v144, 0xbf2c7751, v72 :: v_dual_mul_f32 v161, 0xbf2c7751, v74
	s_delay_alu instid0(VALU_DEP_4) | instskip(SKIP_3) | instid1(VALU_DEP_4)
	v_fma_f32 v93, 0x3f3d2fb0, v56, -v84
	v_mul_f32_e32 v138, 0x3f2c7751, v81
	v_mul_f32_e32 v150, 0xbf7ee86f, v68
	v_add_f32_e32 v102, v104, v102
	v_dual_fmamk_f32 v162, v54, 0x3f3d2fb0, v161 :: v_dual_add_f32 v87, v93, v87
	v_dual_add_f32 v86, v86, v85 :: v_dual_mul_f32 v93, 0xbf7ee86f, v76
	s_delay_alu instid0(VALU_DEP_4) | instskip(SKIP_2) | instid1(VALU_DEP_4)
	v_fma_f32 v152, 0x3dbcf732, v52, -v150
	v_mul_f32_e32 v140, 0xbeb8f4ab, v71
	v_mul_f32_e32 v142, 0xbf7ee86f, v78
	v_dual_add_f32 v86, v89, v86 :: v_dual_mul_f32 v85, 0xbf4c4adb, v73
	v_fmamk_f32 v89, v62, 0x3ee437d1, v90
	v_mul_f32_e32 v146, 0xbf7ee86f, v74
	v_mul_f32_e32 v154, 0x3f06c442, v81
	s_delay_alu instid0(VALU_DEP_4)
	v_add_f32_e32 v86, v94, v86
	v_fmamk_f32 v94, v64, 0xbe8c1d8e, v82
	v_fma_f32 v103, 0xbf1a4643, v59, -v85
	v_fmamk_f32 v148, v54, 0x3dbcf732, v146
	v_mul_f32_e32 v156, 0x3f763a35, v83
	v_dual_add_f32 v86, v89, v86 :: v_dual_mul_f32 v89, 0x3f65296c, v71
	s_delay_alu instid0(VALU_DEP_4) | instskip(SKIP_2) | instid1(VALU_DEP_4)
	v_add_f32_e32 v103, v103, v87
	v_mul_f32_e32 v87, 0xbf763a35, v78
	v_mul_f32_e32 v158, 0x3f65296c, v80
	v_add_f32_e32 v110, v94, v86
	v_mul_f32_e32 v94, 0x3f4c4adb, v79
	v_mul_f32_e32 v86, 0x3f7ee86f, v77
	v_fmamk_f32 v104, v55, 0x3dbcf732, v93
	v_fma_f32 v105, 0x3ee437d1, v61, -v89
	v_mul_f32_e32 v109, 0xbe3c28d5, v83
	v_fma_f32 v90, 0x3ee437d1, v62, -v90
	s_delay_alu instid0(VALU_DEP_4) | instskip(NEXT) | instid1(VALU_DEP_4)
	v_dual_fmamk_f32 v35, v66, 0x3dbcf732, v86 :: v_dual_add_f32 v102, v104, v102
	v_dual_fmamk_f32 v104, v58, 0xbf1a4643, v94 :: v_dual_add_f32 v103, v105, v103
	v_fma_f32 v82, 0xbe8c1d8e, v64, -v82
	v_fma_f32 v97, 0xbf59a7d5, v55, -v97
	v_mul_f32_e32 v129, 0xbf4c4adb, v74
	s_delay_alu instid0(VALU_DEP_4)
	v_add_f32_e32 v108, v104, v102
	v_add_f32_e32 v104, v0, v107
	v_fma_f32 v107, 0x3ee437d1, v52, -v115
	v_fma_f32 v105, 0xbe8c1d8e, v63, -v87
	v_mul_f32_e32 v141, 0xbf7ee86f, v80
	v_mul_f32_e32 v139, 0xbeb8f4ab, v83
	v_mul_f32_e32 v143, 0xbf06c442, v77
	v_add_f32_e32 v33, v107, v104
	v_mul_f32_e32 v107, 0x3f4c4adb, v70
	v_mul_f32_e32 v104, 0xbeb8f4ab, v73
	v_add_f32_e32 v130, v105, v103
	v_mul_f32_e32 v105, 0xbe3c28d5, v71
	v_add_f32_e32 v33, v34, v33
	v_fma_f32 v34, 0xbf1a4643, v56, -v107
	v_mul_f32_e32 v102, 0x3f7ee86f, v75
	v_mul_f32_e32 v103, 0x3f2c7751, v80
	v_fma_f32 v133, 0xbf7ba420, v61, -v105
	v_add_f32_e32 v29, v128, v29
	v_add_f32_e32 v33, v34, v33
	v_fma_f32 v34, 0x3f6eb680, v59, -v104
	v_fma_f32 v131, 0x3dbcf732, v65, -v102
	s_delay_alu instid0(VALU_DEP_4) | instskip(NEXT) | instid1(VALU_DEP_3)
	v_dual_fmamk_f32 v132, v64, 0x3f3d2fb0, v103 :: v_dual_add_f32 v29, v29, v31
	v_dual_add_f32 v31, v28, v30 :: v_dual_add_f32 v34, v34, v33
	v_dual_add_f32 v33, v35, v110 :: v_dual_mul_f32 v110, 0xbf763a35, v77
	s_delay_alu instid0(VALU_DEP_2) | instskip(NEXT) | instid1(VALU_DEP_3)
	v_dual_add_f32 v25, v29, v25 :: v_dual_add_f32 v24, v31, v24
	v_dual_add_f32 v34, v133, v34 :: v_dual_mul_f32 v133, 0xbf1a4643, v57
	v_fmamk_f32 v32, v60, 0x3f6eb680, v113
	s_delay_alu instid0(VALU_DEP_4) | instskip(NEXT) | instid1(VALU_DEP_4)
	v_fmamk_f32 v134, v66, 0xbe8c1d8e, v110
	v_dual_add_f32 v26, v24, v26 :: v_dual_mul_f32 v29, 0x3f2c7751, v69
	v_mul_f32_e32 v28, 0x3f06c442, v68
	s_delay_alu instid0(VALU_DEP_4) | instskip(SKIP_1) | instid1(VALU_DEP_4)
	v_add_f32_e32 v32, v32, v108
	v_fmamk_f32 v108, v62, 0xbf7ba420, v109
	v_add_f32_e32 v20, v26, v20
	v_mul_f32_e32 v128, 0xbf65296c, v72
	v_fmac_f32_e32 v102, 0x3dbcf732, v65
	v_mul_f32_e32 v164, 0xbf65296c, v69
	v_add_f32_e32 v32, v108, v32
	v_mul_f32_e32 v108, 0x3f2c7751, v78
	v_add_f32_e32 v22, v20, v22
	v_mul_f32_e32 v20, 0x3f7ee86f, v71
	v_mul_f32_e32 v145, 0xbf06c442, v75
	v_dual_add_f32 v35, v132, v32 :: v_dual_add_f32 v32, v131, v130
	v_dual_mul_f32 v130, 0xbe8c1d8e, v54 :: v_dual_add_f32 v131, v106, v133
	v_fma_f32 v132, 0x3f3d2fb0, v63, -v108
	s_delay_alu instid0(VALU_DEP_3) | instskip(NEXT) | instid1(VALU_DEP_3)
	v_dual_add_f32 v35, v134, v35 :: v_dual_mul_f32 v134, 0xbe8c1d8e, v52
	v_add_f32_e32 v124, v124, v130
	v_mul_f32_e32 v130, 0xbf1a4643, v51
	v_dual_add_f32 v131, v1, v131 :: v_dual_add_f32 v16, v22, v16
	s_delay_alu instid0(VALU_DEP_4) | instskip(SKIP_1) | instid1(VALU_DEP_4)
	v_sub_f32_e32 v112, v134, v112
	v_mul_f32_e32 v22, 0xbe3c28d5, v74
	v_sub_f32_e32 v40, v130, v40
	s_delay_alu instid0(VALU_DEP_4) | instskip(SKIP_1) | instid1(VALU_DEP_3)
	v_dual_add_f32 v124, v124, v131 :: v_dual_mul_f32 v131, 0x3f6eb680, v53
	v_mul_f32_e32 v130, 0xbf59a7d5, v58
	v_dual_mul_f32 v147, 0xbf2c7751, v67 :: v_dual_add_f32 v40, v0, v40
	v_mul_f32_e32 v151, 0xbe3c28d5, v79
	s_delay_alu instid0(VALU_DEP_3) | instskip(NEXT) | instid1(VALU_DEP_3)
	v_dual_sub_f32 v41, v131, v41 :: v_dual_add_f32 v120, v120, v130
	v_dual_mul_f32 v131, 0xbf65296c, v67 :: v_dual_add_f32 v40, v112, v40
	v_mul_f32_e32 v112, 0xbf59a7d5, v56
	v_mul_f32_e32 v130, 0x3f2c7751, v77
	;; [unrolled: 1-line block ×3, first 2 shown]
	s_delay_alu instid0(VALU_DEP_4) | instskip(NEXT) | instid1(VALU_DEP_4)
	v_dual_mul_f32 v155, 0xbe3c28d5, v70 :: v_dual_add_f32 v40, v41, v40
	v_sub_f32_e32 v41, v112, v111
	v_mul_f32_e32 v111, 0x3dbcf732, v59
	v_mul_f32_e32 v157, 0x3f06c442, v73
	;; [unrolled: 1-line block ×3, first 2 shown]
	s_delay_alu instid0(VALU_DEP_4) | instskip(NEXT) | instid1(VALU_DEP_4)
	v_dual_mul_f32 v159, 0x3f763a35, v71 :: v_dual_add_f32 v40, v41, v40
	v_sub_f32_e32 v41, v111, v117
	v_mul_f32_e32 v111, 0x3f3d2fb0, v61
	v_mul_f32_e32 v165, 0x3eb8f4ab, v75
	v_fmac_f32_e32 v95, 0xbf7ba420, v51
	s_delay_alu instid0(VALU_DEP_4) | instskip(NEXT) | instid1(VALU_DEP_4)
	v_dual_mul_f32 v163, 0xbeb8f4ab, v67 :: v_dual_add_f32 v40, v41, v40
	v_sub_f32_e32 v41, v111, v119
	v_mul_f32_e32 v119, 0x3f06c442, v74
	v_add_f32_e32 v34, v132, v34
	v_mul_f32_e32 v132, 0x3f6eb680, v55
	s_delay_alu instid0(VALU_DEP_4) | instskip(SKIP_1) | instid1(VALU_DEP_3)
	v_dual_mul_f32 v111, 0xbf7ba420, v63 :: v_dual_add_f32 v40, v41, v40
	v_fmac_f32_e32 v115, 0x3ee437d1, v52
	v_dual_fmac_f32 v87, 0xbe8c1d8e, v63 :: v_dual_add_f32 v118, v118, v132
	s_delay_alu instid0(VALU_DEP_3) | instskip(SKIP_2) | instid1(VALU_DEP_4)
	v_sub_f32_e32 v41, v111, v121
	v_fmamk_f32 v121, v54, 0xbf59a7d5, v119
	v_mul_f32_e32 v132, 0x3e3c28d5, v76
	v_dual_fmac_f32 v105, 0xbf7ba420, v61 :: v_dual_add_f32 v118, v118, v124
	v_mul_f32_e32 v124, 0x3dbcf732, v60
	v_add_f32_e32 v40, v41, v40
	s_delay_alu instid0(VALU_DEP_4) | instskip(NEXT) | instid1(VALU_DEP_4)
	v_fmamk_f32 v134, v55, 0xbf7ba420, v132
	v_dual_fmac_f32 v85, 0xbf1a4643, v59 :: v_dual_add_f32 v118, v120, v118
	s_delay_alu instid0(VALU_DEP_4) | instskip(SKIP_2) | instid1(VALU_DEP_3)
	v_add_f32_e32 v120, v122, v124
	v_mul_f32_e32 v122, 0x3f3d2fb0, v62
	v_fmac_f32_e32 v89, 0x3ee437d1, v61
	v_dual_fmac_f32 v107, 0xbf1a4643, v56 :: v_dual_add_f32 v112, v120, v118
	s_delay_alu instid0(VALU_DEP_3) | instskip(SKIP_1) | instid1(VALU_DEP_2)
	v_add_f32_e32 v118, v125, v122
	v_mul_f32_e32 v120, 0xbf7ba420, v64
	v_add_f32_e32 v117, v118, v112
	s_delay_alu instid0(VALU_DEP_2) | instskip(SKIP_3) | instid1(VALU_DEP_4)
	v_add_f32_e32 v118, v127, v120
	v_mul_f32_e32 v120, 0x3ee437d1, v66
	v_mul_f32_e32 v112, 0xbf763a35, v72
	v_fma_f32 v127, 0x3ee437d1, v51, -v131
	v_dual_fmac_f32 v108, 0x3f3d2fb0, v63 :: v_dual_add_f32 v117, v118, v117
	s_delay_alu instid0(VALU_DEP_4) | instskip(SKIP_3) | instid1(VALU_DEP_4)
	v_add_f32_e32 v124, v126, v120
	v_mul_f32_e32 v118, 0x3f2c7751, v76
	v_mul_f32_e32 v120, 0xbf65296c, v79
	v_dual_add_f32 v135, v0, v127 :: v_dual_fmamk_f32 v126, v54, 0xbf1a4643, v129
	v_dual_add_f32 v41, v124, v117 :: v_dual_add_f32 v124, v25, v27
	v_mul_f32_e32 v25, 0xbf65296c, v70
	v_mul_f32_e32 v27, 0xbeb8f4ab, v80
	;; [unrolled: 1-line block ×3, first 2 shown]
	v_fmac_f32_e32 v131, 0x3ee437d1, v51
	v_add_f32_e32 v21, v124, v21
	s_delay_alu instid0(VALU_DEP_1) | instskip(SKIP_1) | instid1(VALU_DEP_2)
	v_add_f32_e32 v23, v21, v23
	v_mul_f32_e32 v21, 0xbf7ee86f, v72
	v_add_f32_e32 v17, v23, v17
	v_fma_f32 v23, 0x3dbcf732, v61, -v20
	v_fmamk_f32 v122, v57, 0xbe8c1d8e, v112
	v_mul_f32_e32 v106, 0xbf763a35, v75
	s_delay_alu instid0(VALU_DEP_4) | instskip(NEXT) | instid1(VALU_DEP_3)
	v_add_f32_e32 v17, v17, v19
	v_dual_mul_f32 v30, 0x3f7ee86f, v83 :: v_dual_add_f32 v111, v1, v122
	v_mul_f32_e32 v122, 0x3ee437d1, v65
	s_delay_alu instid0(VALU_DEP_4) | instskip(NEXT) | instid1(VALU_DEP_4)
	v_fma_f32 v133, 0xbe8c1d8e, v65, -v106
	v_add_f32_e32 v13, v17, v13
	v_mul_f32_e32 v17, 0xbf4c4adb, v75
	v_add_f32_e32 v111, v121, v111
	v_dual_fmamk_f32 v121, v55, 0x3f3d2fb0, v118 :: v_dual_sub_f32 v122, v122, v123
	v_dual_add_f32 v34, v133, v34 :: v_dual_mul_f32 v19, 0x3f763a35, v76
	s_delay_alu instid0(VALU_DEP_4) | instskip(NEXT) | instid1(VALU_DEP_3)
	v_fma_f32 v124, 0xbf1a4643, v65, -v17
	v_add_f32_e32 v117, v121, v111
	v_fmamk_f32 v121, v58, 0x3ee437d1, v120
	v_dual_mul_f32 v111, 0xbe3c28d5, v81 :: v_dual_add_f32 v40, v122, v40
	v_mul_f32_e32 v133, 0x3f2c7751, v75
	v_mul_f32_e32 v75, 0xbe3c28d5, v75
	s_delay_alu instid0(VALU_DEP_4)
	v_add_f32_e32 v121, v121, v117
	v_mul_f32_e32 v117, 0xbf763a35, v67
	v_fmamk_f32 v122, v60, 0xbf7ba420, v111
	v_mul_f32_e32 v76, 0xbf65296c, v76
	v_fmac_f32_e32 v106, 0xbe8c1d8e, v65
	v_fmac_f32_e32 v17, 0xbf1a4643, v65
	v_fma_f32 v123, 0xbe8c1d8e, v51, -v117
	v_add_f32_e32 v121, v122, v121
	v_fma_f32 v122, 0xbf59a7d5, v52, -v28
	v_fmac_f32_e32 v117, 0xbe8c1d8e, v51
	s_delay_alu instid0(VALU_DEP_4) | instskip(SKIP_2) | instid1(VALU_DEP_3)
	v_add_f32_e32 v31, v0, v123
	v_fmamk_f32 v123, v62, 0x3dbcf732, v30
	v_fma_f32 v30, 0x3dbcf732, v62, -v30
	v_add_f32_e32 v31, v122, v31
	v_fma_f32 v122, 0x3f3d2fb0, v53, -v29
	s_delay_alu instid0(VALU_DEP_4)
	v_add_f32_e32 v121, v123, v121
	v_fmamk_f32 v123, v64, 0x3f6eb680, v27
	v_fma_f32 v27, 0x3f6eb680, v64, -v27
	v_fmac_f32_e32 v29, 0x3f3d2fb0, v53
	v_add_f32_e32 v31, v122, v31
	v_fma_f32 v122, 0x3ee437d1, v56, -v25
	v_dual_add_f32 v26, v123, v121 :: v_dual_fmac_f32 v25, 0x3ee437d1, v56
	s_delay_alu instid0(VALU_DEP_2) | instskip(SKIP_2) | instid1(VALU_DEP_3)
	v_dual_add_f32 v31, v122, v31 :: v_dual_add_f32 v122, v16, v18
	v_mul_f32_e32 v18, 0xbf4c4adb, v77
	v_mul_f32_e32 v16, 0xbeb8f4ab, v78
	v_add_f32_e32 v12, v122, v12
	s_delay_alu instid0(VALU_DEP_3) | instskip(SKIP_1) | instid1(VALU_DEP_4)
	v_fmamk_f32 v122, v66, 0xbf1a4643, v18
	v_mul_f32_e32 v24, 0xbe3c28d5, v73
	v_fma_f32 v123, 0x3f6eb680, v63, -v16
	v_fma_f32 v18, 0xbf1a4643, v66, -v18
	s_delay_alu instid0(VALU_DEP_3) | instskip(NEXT) | instid1(VALU_DEP_1)
	v_fma_f32 v121, 0xbf7ba420, v59, -v24
	v_add_f32_e32 v31, v121, v31
	v_fmamk_f32 v121, v57, 0x3dbcf732, v21
	v_fma_f32 v21, 0x3dbcf732, v57, -v21
	s_delay_alu instid0(VALU_DEP_3) | instskip(NEXT) | instid1(VALU_DEP_3)
	v_dual_fmac_f32 v92, 0x3f6eb680, v52 :: v_dual_add_f32 v23, v23, v31
	v_add_f32_e32 v31, v1, v121
	s_delay_alu instid0(VALU_DEP_3) | instskip(SKIP_1) | instid1(VALU_DEP_4)
	v_add_f32_e32 v21, v1, v21
	v_fmamk_f32 v121, v54, 0xbf7ba420, v22
	v_dual_mul_f32 v160, 0xbeb8f4ab, v72 :: v_dual_add_f32 v123, v123, v23
	v_mul_f32_e32 v23, 0xbf7ee86f, v67
	s_delay_alu instid0(VALU_DEP_3) | instskip(SKIP_4) | instid1(VALU_DEP_4)
	v_dual_fmac_f32 v28, 0xbf59a7d5, v52 :: v_dual_add_f32 v31, v121, v31
	v_add_f32_e32 v121, v13, v15
	v_fmamk_f32 v13, v55, 0xbe8c1d8e, v19
	v_mul_f32_e32 v15, 0x3eb8f4ab, v79
	v_fma_f32 v19, 0xbe8c1d8e, v55, -v19
	v_add_f32_e32 v9, v121, v9
	s_delay_alu instid0(VALU_DEP_4) | instskip(NEXT) | instid1(VALU_DEP_4)
	v_add_f32_e32 v31, v13, v31
	v_fmamk_f32 v125, v58, 0x3f6eb680, v15
	v_mul_f32_e32 v121, 0x3eb8f4ab, v70
	v_fma_f32 v15, 0x3f6eb680, v58, -v15
	v_add_f32_e32 v9, v9, v11
	v_dual_add_f32 v13, v122, v26 :: v_dual_mul_f32 v122, 0xbf06c442, v83
	v_add_f32_e32 v14, v12, v14
	v_add_f32_e32 v12, v124, v123
	;; [unrolled: 1-line block ×3, first 2 shown]
	v_fma_f32 v31, 0x3dbcf732, v51, -v23
	v_mul_f32_e32 v26, 0xbe3c28d5, v68
	v_dual_add_f32 v8, v14, v8 :: v_dual_add_f32 v5, v9, v5
	v_mul_f32_e32 v123, 0xbf65296c, v73
	v_mul_f32_e32 v83, 0xbf4c4adb, v83
	s_delay_alu instid0(VALU_DEP_4) | instskip(NEXT) | instid1(VALU_DEP_4)
	v_fma_f32 v11, 0xbf7ba420, v52, -v26
	v_add_f32_e32 v8, v8, v10
	v_dual_add_f32 v10, v0, v31 :: v_dual_mul_f32 v31, 0x3f763a35, v69
	v_add_f32_e32 v5, v5, v7
	v_fma_f32 v7, 0x3f6eb680, v56, -v121
	s_delay_alu instid0(VALU_DEP_4) | instskip(NEXT) | instid1(VALU_DEP_4)
	v_add_f32_e32 v4, v8, v4
	v_add_f32_e32 v8, v11, v10
	v_fma_f32 v9, 0xbe8c1d8e, v53, -v31
	v_mul_f32_e32 v11, 0xbf06c442, v71
	v_mul_f32_e32 v10, 0x3f4c4adb, v78
	v_add_f32_e32 v4, v4, v6
	v_fma_f32 v22, 0xbf7ba420, v54, -v22
	v_dual_add_f32 v6, v9, v8 :: v_dual_fmamk_f32 v9, v62, 0xbf59a7d5, v122
	v_fmac_f32_e32 v23, 0x3dbcf732, v51
	s_delay_alu instid0(VALU_DEP_3) | instskip(NEXT) | instid1(VALU_DEP_3)
	v_dual_fmac_f32 v84, 0x3f3d2fb0, v56 :: v_dual_add_f32 v21, v22, v21
	v_add_f32_e32 v6, v7, v6
	v_fma_f32 v7, 0x3ee437d1, v59, -v123
	s_delay_alu instid0(VALU_DEP_4) | instskip(NEXT) | instid1(VALU_DEP_4)
	v_add_f32_e32 v23, v0, v23
	v_dual_fmac_f32 v114, 0xbf59a7d5, v51 :: v_dual_add_f32 v19, v19, v21
	s_delay_alu instid0(VALU_DEP_3) | instskip(SKIP_2) | instid1(VALU_DEP_4)
	v_dual_fmac_f32 v31, 0xbe8c1d8e, v53 :: v_dual_add_f32 v6, v7, v6
	v_fma_f32 v7, 0xbf59a7d5, v61, -v11
	v_fmac_f32_e32 v121, 0x3f6eb680, v56
	v_dual_add_f32 v15, v15, v19 :: v_dual_fmac_f32 v20, 0x3dbcf732, v61
	s_delay_alu instid0(VALU_DEP_3) | instskip(SKIP_1) | instid1(VALU_DEP_1)
	v_dual_fmac_f32 v123, 0x3ee437d1, v59 :: v_dual_add_f32 v6, v7, v6
	v_fma_f32 v7, 0xbf1a4643, v63, -v10
	v_dual_fmac_f32 v11, 0xbf59a7d5, v61 :: v_dual_add_f32 v6, v7, v6
	v_fmamk_f32 v7, v66, 0x3f3d2fb0, v130
	v_mul_f32_e32 v14, 0xbf65296c, v81
	v_mul_f32_e32 v81, 0xbf763a35, v81
	s_delay_alu instid0(VALU_DEP_2) | instskip(NEXT) | instid1(VALU_DEP_1)
	v_fmamk_f32 v125, v60, 0x3ee437d1, v14
	v_add_f32_e32 v8, v125, v124
	v_mul_f32_e32 v124, 0x3f4c4adb, v80
	v_mul_f32_e32 v125, 0xbf4c4adb, v68
	;; [unrolled: 1-line block ×3, first 2 shown]
	s_delay_alu instid0(VALU_DEP_3) | instskip(NEXT) | instid1(VALU_DEP_3)
	v_dual_add_f32 v8, v9, v8 :: v_dual_fmamk_f32 v9, v64, 0xbf1a4643, v124
	v_fma_f32 v136, 0xbf1a4643, v52, -v125
	v_fmac_f32_e32 v125, 0xbf1a4643, v52
	s_delay_alu instid0(VALU_DEP_3) | instskip(SKIP_1) | instid1(VALU_DEP_1)
	v_add_f32_e32 v8, v9, v8
	v_fmamk_f32 v9, v57, 0x3ee437d1, v128
	v_dual_add_f32 v9, v1, v9 :: v_dual_fmac_f32 v16, 0x3f6eb680, v63
	s_delay_alu instid0(VALU_DEP_1) | instskip(SKIP_3) | instid1(VALU_DEP_4)
	v_dual_add_f32 v9, v126, v9 :: v_dual_mul_f32 v126, 0x3f763a35, v79
	v_mul_f32_e32 v79, 0xbf7ee86f, v79
	v_fmac_f32_e32 v26, 0xbf7ba420, v52
	v_fmac_f32_e32 v88, 0xbf59a7d5, v53
	v_add_f32_e32 v9, v134, v9
	v_dual_fmamk_f32 v137, v58, 0xbe8c1d8e, v126 :: v_dual_add_f32 v134, v136, v135
	v_fma_f32 v135, 0xbf7ba420, v53, -v127
	v_dual_mul_f32 v136, 0x3f763a35, v70 :: v_dual_add_f32 v21, v26, v23
	s_delay_alu instid0(VALU_DEP_3) | instskip(SKIP_2) | instid1(VALU_DEP_4)
	v_add_f32_e32 v9, v137, v9
	v_fmamk_f32 v137, v60, 0x3f3d2fb0, v138
	v_fmac_f32_e32 v127, 0xbf7ba420, v53
	v_add_f32_e32 v19, v31, v21
	s_delay_alu instid0(VALU_DEP_3)
	v_add_f32_e32 v9, v137, v9
	v_fmamk_f32 v137, v62, 0x3f6eb680, v139
	v_add_f32_e32 v7, v7, v8
	v_fma_f32 v8, 0x3f3d2fb0, v65, -v133
	v_fma_f32 v14, 0x3ee437d1, v60, -v14
	v_add_f32_e32 v19, v121, v19
	v_add_f32_e32 v9, v137, v9
	v_fmamk_f32 v137, v64, 0x3dbcf732, v141
	v_add_f32_e32 v6, v8, v6
	v_add_f32_e32 v8, v135, v134
	v_fma_f32 v134, 0xbe8c1d8e, v56, -v136
	v_mul_f32_e32 v135, 0x3f2c7751, v73
	v_add_f32_e32 v9, v137, v9
	v_fmamk_f32 v137, v66, 0xbf59a7d5, v143
	v_dual_fmac_f32 v116, 0x3dbcf732, v53 :: v_dual_add_f32 v19, v123, v19
	v_add_f32_e32 v8, v134, v8
	v_fma_f32 v134, 0x3f3d2fb0, v59, -v135
	s_delay_alu instid0(VALU_DEP_4)
	v_add_f32_e32 v9, v137, v9
	v_fma_f32 v137, 0xbf59a7d5, v65, -v145
	v_add_f32_e32 v14, v14, v15
	v_fma_f32 v15, 0xbf59a7d5, v62, -v122
	;; [unrolled: 2-line block ×3, first 2 shown]
	v_add_f32_e32 v19, v11, v19
	v_fmac_f32_e32 v10, 0xbf1a4643, v63
	v_add_f32_e32 v14, v15, v14
	v_fma_f32 v15, 0xbf1a4643, v64, -v124
	v_add_f32_e32 v8, v134, v8
	v_fma_f32 v134, 0x3dbcf732, v63, -v142
	v_fmac_f32_e32 v133, 0x3f3d2fb0, v65
	v_fmac_f32_e32 v142, 0x3dbcf732, v63
	;; [unrolled: 1-line block ×3, first 2 shown]
	s_delay_alu instid0(VALU_DEP_4) | instskip(SKIP_1) | instid1(VALU_DEP_2)
	v_dual_fmac_f32 v135, 0x3f3d2fb0, v59 :: v_dual_add_f32 v8, v134, v8
	v_fmamk_f32 v134, v57, 0x3f3d2fb0, v144
	v_add_f32_e32 v8, v137, v8
	v_fma_f32 v137, 0x3f3d2fb0, v51, -v147
	s_delay_alu instid0(VALU_DEP_3) | instskip(NEXT) | instid1(VALU_DEP_2)
	v_dual_add_f32 v134, v1, v134 :: v_dual_fmac_f32 v147, 0x3f3d2fb0, v51
	v_add_f32_e32 v137, v0, v137
	s_delay_alu instid0(VALU_DEP_2) | instskip(NEXT) | instid1(VALU_DEP_2)
	v_add_f32_e32 v134, v148, v134
	v_dual_fmamk_f32 v148, v55, 0xbf1a4643, v149 :: v_dual_add_f32 v137, v152, v137
	v_fma_f32 v152, 0xbf1a4643, v53, -v153
	s_delay_alu instid0(VALU_DEP_2) | instskip(NEXT) | instid1(VALU_DEP_2)
	v_dual_add_f32 v134, v148, v134 :: v_dual_fmac_f32 v153, 0xbf1a4643, v53
	v_add_f32_e32 v137, v152, v137
	v_fma_f32 v152, 0xbf7ba420, v56, -v155
	v_fmac_f32_e32 v136, 0xbe8c1d8e, v56
	v_fmac_f32_e32 v155, 0xbf7ba420, v56
	s_delay_alu instid0(VALU_DEP_3) | instskip(SKIP_1) | instid1(VALU_DEP_1)
	v_add_f32_e32 v137, v152, v137
	v_fma_f32 v152, 0xbf59a7d5, v59, -v157
	v_dual_fmac_f32 v157, 0xbf59a7d5, v59 :: v_dual_add_f32 v72, v152, v137
	v_fma_f32 v137, 0xbe8c1d8e, v61, -v159
	v_mul_f32_e32 v152, 0x3f65296c, v78
	v_mul_f32_e32 v78, 0xbf06c442, v78
	v_dual_fmac_f32 v159, 0xbe8c1d8e, v61 :: v_dual_add_f32 v14, v15, v14
	s_delay_alu instid0(VALU_DEP_4) | instskip(NEXT) | instid1(VALU_DEP_4)
	v_add_f32_e32 v72, v137, v72
	v_fma_f32 v74, 0x3ee437d1, v63, -v152
	v_mul_f32_e32 v137, 0x3eb8f4ab, v77
	s_delay_alu instid0(VALU_DEP_2) | instskip(SKIP_1) | instid1(VALU_DEP_3)
	v_dual_mul_f32 v77, 0xbe3c28d5, v77 :: v_dual_add_f32 v74, v74, v72
	v_fmamk_f32 v148, v58, 0xbf7ba420, v151
	v_fmamk_f32 v72, v66, 0x3f6eb680, v137
	s_delay_alu instid0(VALU_DEP_3) | instskip(NEXT) | instid1(VALU_DEP_3)
	v_fma_f32 v23, 0xbf7ba420, v66, -v77
	v_add_f32_e32 v134, v148, v134
	v_fmamk_f32 v148, v60, 0xbf59a7d5, v154
	s_delay_alu instid0(VALU_DEP_1) | instskip(SKIP_1) | instid1(VALU_DEP_1)
	v_add_f32_e32 v134, v148, v134
	v_fmamk_f32 v148, v62, 0xbe8c1d8e, v156
	v_add_f32_e32 v134, v148, v134
	v_fmamk_f32 v148, v64, 0x3ee437d1, v158
	s_delay_alu instid0(VALU_DEP_1) | instskip(SKIP_1) | instid1(VALU_DEP_1)
	v_add_f32_e32 v134, v148, v134
	v_fmamk_f32 v148, v57, 0x3f6eb680, v160
	v_add_f32_e32 v148, v1, v148
	s_delay_alu instid0(VALU_DEP_1) | instskip(SKIP_3) | instid1(VALU_DEP_4)
	v_dual_add_f32 v67, v162, v148 :: v_dual_fmamk_f32 v148, v55, 0x3ee437d1, v76
	v_mul_f32_e32 v162, 0xbf2c7751, v68
	v_fmamk_f32 v68, v58, 0x3dbcf732, v79
	v_fma_f32 v15, 0x3f3d2fb0, v66, -v130
	v_add_f32_e32 v67, v148, v67
	s_delay_alu instid0(VALU_DEP_4) | instskip(NEXT) | instid1(VALU_DEP_3)
	v_fma_f32 v148, 0x3f3d2fb0, v52, -v162
	v_add_f32_e32 v11, v15, v14
	v_fma_f32 v15, 0xbf7ba420, v55, -v132
	s_delay_alu instid0(VALU_DEP_4) | instskip(SKIP_1) | instid1(VALU_DEP_1)
	v_add_f32_e32 v67, v68, v67
	v_fmamk_f32 v68, v60, 0xbe8c1d8e, v81
	v_dual_add_f32 v67, v68, v67 :: v_dual_fmamk_f32 v68, v62, 0xbf1a4643, v83
	s_delay_alu instid0(VALU_DEP_1) | instskip(SKIP_4) | instid1(VALU_DEP_4)
	v_add_f32_e32 v67, v68, v67
	v_fma_f32 v68, 0xbf7ba420, v57, -v101
	v_dual_mul_f32 v101, 0xbf4c4adb, v71 :: v_dual_add_f32 v72, v72, v134
	v_fma_f32 v134, 0x3f6eb680, v51, -v163
	v_fma_f32 v71, 0x3f6eb680, v54, -v98
	v_add_f32_e32 v68, v1, v68
	v_fmamk_f32 v98, v64, 0xbf59a7d5, v80
	s_delay_alu instid0(VALU_DEP_4) | instskip(SKIP_1) | instid1(VALU_DEP_3)
	v_dual_fmac_f32 v163, 0x3f6eb680, v51 :: v_dual_add_f32 v134, v0, v134
	v_add_f32_e32 v10, v10, v19
	v_dual_add_f32 v68, v71, v68 :: v_dual_add_f32 v67, v98, v67
	v_fma_f32 v19, 0x3f3d2fb0, v57, -v144
	s_delay_alu instid0(VALU_DEP_4) | instskip(SKIP_4) | instid1(VALU_DEP_4)
	v_add_f32_e32 v69, v148, v134
	v_fma_f32 v134, 0x3ee437d1, v53, -v164
	v_mul_f32_e32 v148, 0xbf7ee86f, v70
	v_add_f32_e32 v68, v97, v68
	v_fmac_f32_e32 v150, 0x3dbcf732, v52
	v_dual_fmac_f32 v24, 0xbf7ba420, v59 :: v_dual_add_f32 v69, v134, v69
	s_delay_alu instid0(VALU_DEP_4)
	v_fma_f32 v70, 0x3dbcf732, v56, -v148
	v_mul_f32_e32 v134, 0xbf763a35, v73
	v_fma_f32 v73, 0x3f6eb680, v65, -v165
	v_fmac_f32_e32 v165, 0x3f6eb680, v65
	v_add_f32_e32 v19, v1, v19
	v_add_f32_e32 v69, v70, v69
	v_fma_f32 v70, 0xbe8c1d8e, v59, -v134
	v_add_f32_e32 v71, v73, v74
	v_fma_f32 v73, 0x3f3d2fb0, v58, -v96
	v_fmamk_f32 v74, v66, 0xbf7ba420, v77
	s_delay_alu instid0(VALU_DEP_4) | instskip(SKIP_1) | instid1(VALU_DEP_4)
	v_add_f32_e32 v69, v70, v69
	v_fma_f32 v70, 0xbf1a4643, v61, -v101
	v_dual_add_f32 v68, v73, v68 :: v_dual_add_f32 v73, v0, v95
	v_fmac_f32_e32 v101, 0xbf1a4643, v61
	s_delay_alu instid0(VALU_DEP_3) | instskip(SKIP_1) | instid1(VALU_DEP_4)
	v_add_f32_e32 v69, v70, v69
	v_fma_f32 v70, 0xbf59a7d5, v63, -v78
	v_add_f32_e32 v73, v92, v73
	v_fma_f32 v21, 0x3f6eb680, v57, -v160
	s_delay_alu instid0(VALU_DEP_3) | instskip(SKIP_4) | instid1(VALU_DEP_4)
	v_add_f32_e32 v69, v70, v69
	v_fma_f32 v70, 0xbf1a4643, v60, -v91
	v_fma_f32 v91, 0xbf7ba420, v65, -v75
	v_fmac_f32_e32 v75, 0xbf7ba420, v65
	v_fmac_f32_e32 v140, 0x3f6eb680, v61
	v_add_f32_e32 v70, v70, v68
	s_delay_alu instid0(VALU_DEP_4) | instskip(SKIP_1) | instid1(VALU_DEP_3)
	v_dual_add_f32 v68, v74, v67 :: v_dual_add_f32 v67, v91, v69
	v_fma_f32 v74, 0xbf59a7d5, v57, -v99
	v_dual_fmac_f32 v152, 0x3ee437d1, v63 :: v_dual_add_f32 v69, v90, v70
	s_delay_alu instid0(VALU_DEP_2) | instskip(SKIP_1) | instid1(VALU_DEP_2)
	v_dual_add_f32 v70, v88, v73 :: v_dual_add_f32 v73, v1, v74
	v_fma_f32 v74, 0x3ee437d1, v54, -v100
	v_dual_add_f32 v69, v82, v69 :: v_dual_add_f32 v70, v84, v70
	s_delay_alu instid0(VALU_DEP_2) | instskip(SKIP_1) | instid1(VALU_DEP_3)
	v_dual_add_f32 v84, v0, v114 :: v_dual_add_f32 v73, v74, v73
	v_fma_f32 v74, 0x3dbcf732, v55, -v93
	v_add_f32_e32 v70, v85, v70
	s_delay_alu instid0(VALU_DEP_3) | instskip(SKIP_1) | instid1(VALU_DEP_3)
	v_add_f32_e32 v84, v115, v84
	v_fma_f32 v85, 0xbf59a7d5, v54, -v119
	v_dual_add_f32 v73, v74, v73 :: v_dual_add_f32 v70, v89, v70
	v_fma_f32 v74, 0xbf1a4643, v58, -v94
	s_delay_alu instid0(VALU_DEP_4) | instskip(SKIP_1) | instid1(VALU_DEP_4)
	v_add_f32_e32 v82, v116, v84
	v_fma_f32 v84, 0xbe8c1d8e, v57, -v112
	v_dual_fmac_f32 v162, 0x3f3d2fb0, v52 :: v_dual_add_f32 v87, v87, v70
	v_fma_f32 v70, 0x3dbcf732, v66, -v86
	v_add_f32_e32 v86, v0, v117
	v_add_f32_e32 v73, v74, v73
	v_fma_f32 v74, 0x3f6eb680, v60, -v113
	v_add_f32_e32 v82, v107, v82
	v_add_f32_e32 v70, v70, v69
	;; [unrolled: 1-line block ×3, first 2 shown]
	s_delay_alu instid0(VALU_DEP_4) | instskip(SKIP_1) | instid1(VALU_DEP_3)
	v_dual_add_f32 v84, v1, v84 :: v_dual_add_f32 v73, v74, v73
	v_fma_f32 v74, 0xbf7ba420, v62, -v109
	v_dual_add_f32 v69, v102, v87 :: v_dual_add_f32 v28, v29, v28
	v_fmac_f32_e32 v164, 0x3ee437d1, v53
	s_delay_alu instid0(VALU_DEP_3) | instskip(SKIP_1) | instid1(VALU_DEP_4)
	v_dual_fmac_f32 v148, 0x3dbcf732, v56 :: v_dual_add_f32 v73, v74, v73
	v_fmac_f32_e32 v78, 0xbf59a7d5, v63
	v_add_f32_e32 v22, v25, v28
	s_delay_alu instid0(VALU_DEP_1) | instskip(NEXT) | instid1(VALU_DEP_1)
	v_add_f32_e32 v22, v24, v22
	v_add_f32_e32 v20, v20, v22
	v_mul_u32_u24_e32 v22, 0x88, v36
	s_delay_alu instid0(VALU_DEP_2) | instskip(SKIP_2) | instid1(VALU_DEP_4)
	v_add_f32_e32 v16, v16, v20
	v_fmac_f32_e32 v104, 0x3f6eb680, v59
	v_fma_f32 v20, 0xbf1a4643, v54, -v129
	v_add3_u32 v22, 0, v22, v47
	s_delay_alu instid0(VALU_DEP_4)
	v_add_f32_e32 v17, v17, v16
	v_fma_f32 v16, 0x3ee437d1, v57, -v128
	v_add_f32_e32 v74, v104, v82
	v_add_f32_e32 v82, v85, v84
	v_fma_f32 v84, 0x3f3d2fb0, v55, -v118
	v_fma_f32 v85, 0x3f3d2fb0, v64, -v103
	v_add_f32_e32 v16, v1, v16
	v_add_f32_e32 v1, v1, v21
	v_fma_f32 v21, 0x3f6eb680, v66, -v137
	v_add_f32_e32 v82, v84, v82
	v_fma_f32 v84, 0x3ee437d1, v58, -v120
	v_add_f32_e32 v14, v20, v16
	v_add_f32_e32 v16, v0, v131
	;; [unrolled: 1-line block ×3, first 2 shown]
	v_fma_f32 v20, 0x3dbcf732, v54, -v146
	v_add_f32_e32 v82, v84, v82
	v_add_f32_e32 v14, v15, v14
	v_fma_f32 v15, 0xbe8c1d8e, v58, -v126
	v_add_f32_e32 v16, v125, v16
	v_add_f32_e32 v73, v85, v73
	v_fma_f32 v84, 0xbf7ba420, v60, -v111
	s_delay_alu instid0(VALU_DEP_4) | instskip(SKIP_4) | instid1(VALU_DEP_4)
	v_dual_add_f32 v19, v20, v19 :: v_dual_add_f32 v14, v15, v14
	v_fma_f32 v15, 0x3f3d2fb0, v60, -v138
	v_add_f32_e32 v16, v127, v16
	v_fma_f32 v20, 0xbf1a4643, v55, -v149
	v_add_f32_e32 v82, v84, v82
	v_add_f32_e32 v14, v15, v14
	v_fma_f32 v15, 0x3f6eb680, v62, -v139
	v_add_f32_e32 v16, v136, v16
	;; [unrolled: 3-line block ×3, first 2 shown]
	v_add_f32_e32 v14, v15, v14
	v_fma_f32 v15, 0x3dbcf732, v64, -v141
	s_delay_alu instid0(VALU_DEP_4) | instskip(SKIP_2) | instid1(VALU_DEP_4)
	v_dual_add_f32 v16, v135, v16 :: v_dual_add_f32 v19, v20, v19
	v_fma_f32 v20, 0xbf59a7d5, v60, -v154
	v_add_f32_e32 v27, v27, v30
	v_add_f32_e32 v14, v15, v14
	v_fma_f32 v15, 0xbf59a7d5, v66, -v143
	v_add_f32_e32 v16, v140, v16
	v_add_f32_e32 v19, v20, v19
	v_fma_f32 v20, 0xbe8c1d8e, v62, -v156
	s_delay_alu instid0(VALU_DEP_4)
	v_dual_add_f32 v18, v18, v27 :: v_dual_add_f32 v15, v15, v14
	v_add_f32_e32 v85, v108, v74
	v_fma_f32 v74, 0xbe8c1d8e, v66, -v110
	v_add_f32_e32 v14, v142, v16
	v_add_f32_e32 v16, v20, v19
	v_fma_f32 v19, 0x3ee437d1, v64, -v158
	v_add_f32_e32 v20, v0, v147
	v_add_f32_e32 v74, v74, v73
	;; [unrolled: 1-line block ×3, first 2 shown]
	v_fmac_f32_e32 v134, 0xbe8c1d8e, v59
	v_add_f32_e32 v16, v19, v16
	v_add_f32_e32 v19, v150, v20
	v_fma_f32 v20, 0x3f3d2fb0, v54, -v161
	v_add_f32_e32 v0, v162, v0
	v_dual_add_f32 v73, v106, v85 :: v_dual_add_f32 v14, v145, v14
	s_delay_alu instid0(VALU_DEP_4) | instskip(NEXT) | instid1(VALU_DEP_4)
	v_add_f32_e32 v19, v153, v19
	v_add_f32_e32 v1, v20, v1
	v_fma_f32 v20, 0x3ee437d1, v55, -v76
	s_delay_alu instid0(VALU_DEP_3) | instskip(NEXT) | instid1(VALU_DEP_2)
	v_dual_add_f32 v0, v164, v0 :: v_dual_add_f32 v19, v155, v19
	v_add_f32_e32 v1, v20, v1
	v_fma_f32 v20, 0x3dbcf732, v58, -v79
	s_delay_alu instid0(VALU_DEP_3) | instskip(NEXT) | instid1(VALU_DEP_2)
	v_dual_add_f32 v0, v148, v0 :: v_dual_add_f32 v19, v157, v19
	;; [unrolled: 4-line block ×3, first 2 shown]
	v_dual_add_f32 v10, v133, v10 :: v_dual_add_f32 v1, v20, v1
	v_fma_f32 v20, 0xbf1a4643, v62, -v83
	s_delay_alu instid0(VALU_DEP_3) | instskip(NEXT) | instid1(VALU_DEP_2)
	v_dual_add_f32 v19, v152, v19 :: v_dual_add_f32 v0, v101, v0
	v_add_f32_e32 v1, v20, v1
	v_fma_f32 v20, 0xbf59a7d5, v64, -v80
	s_delay_alu instid0(VALU_DEP_3) | instskip(NEXT) | instid1(VALU_DEP_4)
	v_add_f32_e32 v24, v78, v0
	v_add_f32_e32 v0, v165, v19
	s_delay_alu instid0(VALU_DEP_3) | instskip(NEXT) | instid1(VALU_DEP_3)
	v_dual_add_f32 v20, v20, v1 :: v_dual_add_f32 v1, v21, v16
	v_add_f32_e32 v19, v75, v24
	s_delay_alu instid0(VALU_DEP_2)
	v_add_f32_e32 v20, v23, v20
	ds_store_2addr_b64 v22, v[4:5], v[67:68] offset1:1
	ds_store_2addr_b64 v22, v[71:72], v[8:9] offset0:2 offset1:3
	ds_store_2addr_b64 v22, v[6:7], v[12:13] offset0:4 offset1:5
	;; [unrolled: 1-line block ×7, first 2 shown]
	ds_store_b64 v22, v[19:20] offset:128
.LBB0_13:
	s_wait_alu 0xfffe
	s_or_b32 exec_lo, exec_lo, s1
	v_and_b32_e32 v0, 0xff, v36
	global_wb scope:SCOPE_SE
	s_wait_dscnt 0x0
	s_barrier_signal -1
	s_barrier_wait -1
	global_inv scope:SCOPE_SE
	v_mul_lo_u16 v0, 0xf1, v0
	v_cmp_gt_u32_e64 s0, 0x55, v36
	s_delay_alu instid0(VALU_DEP_2) | instskip(NEXT) | instid1(VALU_DEP_1)
	v_lshrrev_b16 v0, 12, v0
	v_mul_lo_u16 v1, v0, 17
	s_delay_alu instid0(VALU_DEP_1) | instskip(NEXT) | instid1(VALU_DEP_1)
	v_sub_nc_u16 v1, v36, v1
	v_and_b32_e32 v40, 0xff, v1
	s_delay_alu instid0(VALU_DEP_1) | instskip(NEXT) | instid1(VALU_DEP_1)
	v_mul_u32_u24_e32 v1, 10, v40
	v_lshlrev_b32_e32 v1, 3, v1
	s_clause 0x4
	global_load_b128 v[4:7], v1, s[4:5]
	global_load_b128 v[8:11], v1, s[4:5] offset:16
	global_load_b128 v[12:15], v1, s[4:5] offset:32
	;; [unrolled: 1-line block ×4, first 2 shown]
	ds_load_2addr_b64 v[24:27], v44 offset0:102 offset1:204
	ds_load_2addr_b64 v[28:31], v50 offset0:50 offset1:152
	v_and_b32_e32 v41, 0xffff, v0
	ds_load_2addr_b32 v[0:1], v49 offset0:252 offset1:253
	ds_load_2addr_b64 v[32:35], v46 offset0:100 offset1:202
	v_lshlrev_b32_e32 v55, 3, v40
	v_mad_u32_u24 v54, 0x5d8, v41, 0
	ds_load_2addr_b64 v[48:51], v48 offset0:48 offset1:150
	ds_load_b64 v[40:41], v42
	ds_load_b64 v[52:53], v44 offset:8160
	global_wb scope:SCOPE_SE
	s_wait_loadcnt_dscnt 0x0
	s_barrier_signal -1
	s_barrier_wait -1
	global_inv scope:SCOPE_SE
	v_mul_f32_e32 v56, v9, v29
	v_add3_u32 v47, v54, v55, v47
	v_mul_f32_e32 v55, v7, v27
	v_dual_mul_f32 v7, v7, v26 :: v_dual_mul_f32 v58, v1, v13
	v_dual_mul_f32 v9, v9, v28 :: v_dual_mul_f32 v60, v35, v17
	v_dual_mul_f32 v13, v13, v0 :: v_dual_mul_f32 v62, v51, v21
	v_mul_f32_e32 v54, v5, v25
	v_mul_f32_e32 v5, v5, v24
	v_fmac_f32_e32 v7, v6, v27
	s_delay_alu instid0(VALU_DEP_4) | instskip(SKIP_4) | instid1(VALU_DEP_3)
	v_fmac_f32_e32 v13, v1, v12
	v_fmac_f32_e32 v9, v8, v29
	v_mul_f32_e32 v63, v50, v21
	v_fma_f32 v24, v4, v24, -v54
	v_fma_f32 v0, v12, v0, -v58
	v_fmac_f32_e32 v63, v51, v20
	v_fmac_f32_e32 v5, v4, v25
	v_fma_f32 v4, v6, v26, -v55
	v_mul_f32_e32 v21, v53, v23
	v_fma_f32 v25, v50, v20, -v62
	v_mul_f32_e32 v23, v52, v23
	v_fma_f32 v6, v8, v28, -v56
	v_sub_f32_e32 v28, v7, v63
	v_fma_f32 v26, v52, v22, -v21
	v_sub_f32_e32 v27, v4, v25
	v_mul_f32_e32 v57, v11, v31
	v_mul_f32_e32 v17, v34, v17
	v_fmac_f32_e32 v23, v53, v22
	v_dual_sub_f32 v21, v24, v26 :: v_dual_mul_f32 v64, 0x3e903f40, v28
	v_dual_mul_f32 v62, 0xbf4178ce, v27 :: v_dual_mul_f32 v11, v11, v30
	s_delay_alu instid0(VALU_DEP_3) | instskip(SKIP_2) | instid1(VALU_DEP_4)
	v_add_f32_e32 v20, v5, v23
	v_mul_f32_e32 v59, v33, v15
	v_dual_mul_f32 v61, v49, v19 :: v_dual_add_f32 v22, v4, v25
	v_dual_fmac_f32 v11, v10, v31 :: v_dual_mul_f32 v54, 0xbf68dda4, v21
	v_fmac_f32_e32 v17, v35, v16
	v_mul_f32_e32 v15, v32, v15
	v_mul_f32_e32 v19, v48, v19
	v_fma_f32 v8, v10, v30, -v57
	v_fma_f32 v10, v34, v16, -v60
	;; [unrolled: 1-line block ×3, first 2 shown]
	s_delay_alu instid0(VALU_DEP_4)
	v_dual_sub_f32 v48, v11, v17 :: v_dual_fmac_f32 v19, v49, v18
	v_add_f32_e32 v18, v24, v26
	v_fma_f32 v1, v32, v14, -v59
	v_dual_add_f32 v34, v11, v17 :: v_dual_fmac_f32 v15, v33, v14
	v_mul_f32_e32 v58, 0xbf4178ce, v21
	v_add_f32_e32 v14, v24, v40
	v_add_f32_e32 v16, v5, v41
	v_dual_sub_f32 v5, v5, v23 :: v_dual_mul_f32 v66, 0x3f7d64f0, v28
	v_mul_f32_e32 v56, 0xbf7d64f0, v21
	s_delay_alu instid0(VALU_DEP_4) | instskip(SKIP_3) | instid1(VALU_DEP_4)
	v_add_f32_e32 v4, v14, v4
	v_dual_add_f32 v29, v6, v12 :: v_dual_add_f32 v50, v13, v15
	v_sub_f32_e32 v52, v13, v15
	v_add_f32_e32 v24, v7, v63
	v_add_f32_e32 v4, v4, v6
	v_mul_f32_e32 v14, 0xbf0a6770, v5
	v_mul_f32_e32 v53, 0xbf68dda4, v5
	;; [unrolled: 1-line block ×6, first 2 shown]
	v_sub_f32_e32 v32, v9, v19
	v_add_f32_e32 v7, v16, v7
	v_add_f32_e32 v33, v8, v10
	v_sub_f32_e32 v35, v8, v10
	s_delay_alu instid0(VALU_DEP_4)
	v_dual_add_f32 v49, v0, v1 :: v_dual_mul_f32 v72, 0x3f68dda4, v32
	v_dual_sub_f32 v51, v0, v1 :: v_dual_mul_f32 v74, 0xbf0a6770, v32
	v_mul_f32_e32 v16, 0xbf0a6770, v21
	v_mul_f32_e32 v55, 0xbf7d64f0, v5
	v_dual_mul_f32 v57, 0xbf4178ce, v5 :: v_dual_mul_f32 v76, 0xbf4178ce, v48
	v_dual_mul_f32 v5, 0xbe903f40, v5 :: v_dual_mul_f32 v82, 0xbe903f40, v48
	;; [unrolled: 1-line block ×4, first 2 shown]
	v_mul_f32_e32 v68, 0xbf7d64f0, v32
	v_mul_f32_e32 v70, 0x3e903f40, v32
	;; [unrolled: 1-line block ×3, first 2 shown]
	v_dual_sub_f32 v31, v6, v12 :: v_dual_add_f32 v6, v7, v9
	v_mul_f32_e32 v86, 0x3f0a6770, v52
	v_fma_f32 v7, 0x3f575c64, v18, -v14
	v_add_f32_e32 v4, v4, v8
	v_fma_f32 v92, 0x3ed4b147, v18, -v53
	v_mul_f32_e32 v65, 0x3e903f40, v27
	v_mul_f32_e32 v27, 0x3f0a6770, v27
	v_add_f32_e32 v30, v9, v19
	v_mul_f32_e32 v73, 0x3f68dda4, v31
	v_dual_mul_f32 v75, 0xbf0a6770, v31 :: v_dual_mul_f32 v80, 0xbf0a6770, v48
	v_mul_f32_e32 v88, 0xbf4178ce, v52
	v_mul_f32_e32 v90, 0x3f68dda4, v52
	;; [unrolled: 1-line block ×3, first 2 shown]
	v_fmamk_f32 v9, v20, 0x3f575c64, v16
	v_dual_fmac_f32 v14, 0x3f575c64, v18 :: v_dual_fmamk_f32 v107, v24, 0x3f575c64, v27
	v_fma_f32 v16, 0x3f575c64, v20, -v16
	v_fmac_f32_e32 v53, 0x3ed4b147, v18
	v_fma_f32 v94, 0xbe11bafb, v18, -v55
	v_fmac_f32_e32 v55, 0xbe11bafb, v18
	v_fma_f32 v96, 0xbf27a4f4, v18, -v57
	v_mul_f32_e32 v81, 0xbf0a6770, v35
	v_fmac_f32_e32 v57, 0xbf27a4f4, v18
	v_fma_f32 v98, 0xbf75a155, v18, -v5
	v_fmamk_f32 v99, v20, 0xbf75a155, v21
	v_fmac_f32_e32 v5, 0xbf75a155, v18
	v_fma_f32 v18, 0xbf75a155, v20, -v21
	v_fmamk_f32 v101, v24, 0xbf27a4f4, v62
	v_fma_f32 v62, 0xbf27a4f4, v24, -v62
	v_fmamk_f32 v93, v20, 0x3ed4b147, v54
	v_mul_f32_e32 v69, 0xbf7d64f0, v31
	v_fma_f32 v54, 0x3ed4b147, v20, -v54
	v_fma_f32 v102, 0xbf75a155, v22, -v64
	v_fmamk_f32 v95, v20, 0xbe11bafb, v56
	v_mul_f32_e32 v77, 0xbf4178ce, v35
	v_fma_f32 v56, 0xbe11bafb, v20, -v56
	v_mul_f32_e32 v79, 0x3f7d64f0, v35
	v_fmamk_f32 v105, v24, 0xbe11bafb, v67
	v_fma_f32 v67, 0xbe11bafb, v24, -v67
	v_fmamk_f32 v97, v20, 0xbf27a4f4, v58
	v_fma_f32 v58, 0xbf27a4f4, v20, -v58
	v_mul_f32_e32 v83, 0xbe903f40, v35
	v_mul_f32_e32 v35, 0x3f68dda4, v35
	v_fma_f32 v110, 0x3ed4b147, v29, -v72
	v_fmac_f32_e32 v72, 0x3ed4b147, v29
	v_mul_f32_e32 v71, 0x3e903f40, v31
	v_mul_f32_e32 v31, 0xbf4178ce, v31
	v_fma_f32 v124, 0x3f575c64, v49, -v86
	v_dual_fmac_f32 v86, 0x3f575c64, v49 :: v_dual_add_f32 v7, v7, v40
	v_add_f32_e32 v6, v6, v11
	v_fma_f32 v20, 0x3ed4b147, v22, -v59
	v_mul_f32_e32 v48, 0x3f68dda4, v48
	v_mul_f32_e32 v85, 0xbe903f40, v51
	v_dual_mul_f32 v89, 0xbf4178ce, v51 :: v_dual_add_f32 v0, v4, v0
	v_dual_mul_f32 v91, 0x3f68dda4, v51 :: v_dual_add_f32 v4, v6, v13
	v_fmamk_f32 v21, v24, 0x3ed4b147, v60
	v_fmac_f32_e32 v59, 0x3ed4b147, v22
	v_fma_f32 v60, 0x3ed4b147, v24, -v60
	v_fmac_f32_e32 v64, 0xbf75a155, v22
	v_fma_f32 v104, 0xbe11bafb, v22, -v66
	;; [unrolled: 2-line block ×3, first 2 shown]
	v_dual_fmac_f32 v28, 0x3f575c64, v22 :: v_dual_fmamk_f32 v113, v30, 0x3f575c64, v75
	v_fma_f32 v108, 0xbf75a155, v29, -v70
	v_fmac_f32_e32 v70, 0xbf75a155, v29
	v_fmamk_f32 v111, v30, 0x3ed4b147, v73
	v_fma_f32 v112, 0x3f575c64, v29, -v74
	v_fma_f32 v114, 0xbf27a4f4, v29, -v32
	v_dual_fmamk_f32 v115, v30, 0xbf27a4f4, v31 :: v_dual_fmac_f32 v32, 0xbf27a4f4, v29
	v_fma_f32 v128, 0x3ed4b147, v49, -v90
	v_fmac_f32_e32 v90, 0x3ed4b147, v49
	v_add_f32_e32 v8, v9, v41
	v_fma_f32 v100, 0xbf27a4f4, v22, -v61
	v_fmac_f32_e32 v61, 0xbf27a4f4, v22
	v_fma_f32 v22, 0x3f575c64, v24, -v27
	v_add_f32_e32 v9, v14, v40
	v_add_f32_e32 v14, v92, v40
	v_fmamk_f32 v103, v24, 0xbf75a155, v65
	v_fma_f32 v65, 0xbf75a155, v24, -v65
	v_fma_f32 v24, 0xbe11bafb, v29, -v68
	v_fmac_f32_e32 v68, 0xbe11bafb, v29
	v_add_f32_e32 v92, v96, v40
	v_dual_fmac_f32 v74, 0x3f575c64, v29 :: v_dual_fmamk_f32 v119, v34, 0x3f575c64, v81
	v_fma_f32 v29, 0xbf27a4f4, v30, -v31
	v_dual_fmamk_f32 v31, v34, 0xbf27a4f4, v77 :: v_dual_add_f32 v6, v20, v7
	v_dual_mul_f32 v87, 0x3f0a6770, v51 :: v_dual_add_f32 v18, v18, v41
	v_fmamk_f32 v109, v30, 0xbf75a155, v71
	v_fma_f32 v71, 0xbf75a155, v30, -v71
	v_fma_f32 v73, 0x3ed4b147, v30, -v73
	;; [unrolled: 1-line block ×4, first 2 shown]
	v_fmac_f32_e32 v78, 0xbe11bafb, v33
	v_fma_f32 v118, 0x3f575c64, v33, -v80
	v_dual_fmac_f32 v80, 0x3f575c64, v33 :: v_dual_fmamk_f32 v125, v50, 0x3f575c64, v87
	v_fma_f32 v120, 0xbf75a155, v33, -v82
	v_fmac_f32_e32 v82, 0xbf75a155, v33
	v_fma_f32 v122, 0x3ed4b147, v33, -v48
	v_dual_fmamk_f32 v123, v34, 0x3ed4b147, v35 :: v_dual_fmac_f32 v48, 0x3ed4b147, v33
	v_mul_f32_e32 v51, 0xbf7d64f0, v51
	v_fmamk_f32 v127, v50, 0xbf27a4f4, v89
	v_add_f32_e32 v11, v16, v41
	v_dual_add_f32 v16, v93, v41 :: v_dual_fmamk_f32 v27, v30, 0xbe11bafb, v69
	v_fma_f32 v69, 0xbe11bafb, v30, -v69
	v_fma_f32 v30, 0xbf27a4f4, v33, -v76
	v_fmac_f32_e32 v76, 0xbf27a4f4, v33
	v_fma_f32 v33, 0x3ed4b147, v34, -v35
	v_dual_fmamk_f32 v35, v50, 0xbf75a155, v85 :: v_dual_add_f32 v0, v0, v1
	v_add_f32_e32 v1, v4, v15
	v_add_f32_e32 v4, v24, v6
	v_fma_f32 v77, 0xbf27a4f4, v34, -v77
	v_fma_f32 v81, 0x3f575c64, v34, -v81
	;; [unrolled: 1-line block ×5, first 2 shown]
	v_fmac_f32_e32 v88, 0xbf27a4f4, v49
	v_fma_f32 v89, 0xbf27a4f4, v50, -v89
	v_fma_f32 v130, 0xbe11bafb, v49, -v52
	v_dual_fmac_f32 v52, 0xbe11bafb, v49 :: v_dual_add_f32 v55, v55, v40
	v_dual_add_f32 v56, v56, v41 :: v_dual_fmamk_f32 v117, v34, 0xbe11bafb, v79
	v_fma_f32 v79, 0xbe11bafb, v34, -v79
	v_add_f32_e32 v58, v58, v41
	v_fmamk_f32 v121, v34, 0xbf75a155, v83
	v_fma_f32 v83, 0xbf75a155, v34, -v83
	v_fma_f32 v34, 0xbf75a155, v49, -v84
	v_dual_fmac_f32 v84, 0xbf75a155, v49 :: v_dual_add_f32 v7, v21, v8
	v_fmamk_f32 v129, v50, 0x3ed4b147, v91
	v_fma_f32 v91, 0x3ed4b147, v50, -v91
	v_add_f32_e32 v8, v59, v9
	v_fma_f32 v49, 0xbe11bafb, v50, -v51
	v_add_f32_e32 v6, v27, v7
	v_dual_add_f32 v9, v60, v11 :: v_dual_add_f32 v4, v30, v4
	v_dual_fmamk_f32 v131, v50, 0xbe11bafb, v51 :: v_dual_add_f32 v50, v53, v40
	s_delay_alu instid0(VALU_DEP_2) | instskip(SKIP_2) | instid1(VALU_DEP_4)
	v_dual_add_f32 v7, v68, v8 :: v_dual_add_f32 v8, v69, v9
	v_add_f32_e32 v11, v100, v14
	v_add_f32_e32 v57, v57, v40
	;; [unrolled: 1-line block ×6, first 2 shown]
	v_dual_add_f32 v5, v5, v40 :: v_dual_add_f32 v0, v0, v10
	v_dual_add_f32 v40, v64, v55 :: v_dual_add_f32 v51, v54, v41
	v_add_f32_e32 v18, v22, v18
	v_dual_add_f32 v22, v112, v50 :: v_dual_add_f32 v13, v101, v16
	v_add_f32_e32 v20, v102, v53
	v_add_f32_e32 v54, v95, v41
	;; [unrolled: 1-line block ×3, first 2 shown]
	s_delay_alu instid0(VALU_DEP_4)
	v_add_f32_e32 v22, v120, v22
	v_add_f32_e32 v9, v108, v11
	;; [unrolled: 1-line block ×4, first 2 shown]
	v_dual_add_f32 v54, v67, v58 :: v_dual_add_f32 v93, v97, v41
	v_add_f32_e32 v15, v110, v20
	v_add_f32_e32 v20, v72, v40
	v_dual_add_f32 v16, v62, v51 :: v_dual_add_f32 v5, v28, v5
	v_add_f32_e32 v13, v70, v14
	v_add_f32_e32 v28, v75, v54
	;; [unrolled: 1-line block ×3, first 2 shown]
	s_delay_alu instid0(VALU_DEP_4) | instskip(SKIP_4) | instid1(VALU_DEP_4)
	v_add_f32_e32 v14, v71, v16
	v_add_f32_e32 v16, v111, v21
	;; [unrolled: 1-line block ×3, first 2 shown]
	v_dual_add_f32 v95, v99, v41 :: v_dual_add_f32 v18, v29, v18
	v_add_f32_e32 v6, v31, v6
	v_add_f32_e32 v30, v119, v16
	s_delay_alu instid0(VALU_DEP_4) | instskip(SKIP_3) | instid1(VALU_DEP_4)
	v_dual_add_f32 v24, v113, v51 :: v_dual_add_f32 v55, v106, v94
	v_add_f32_e32 v11, v78, v13
	v_add_f32_e32 v33, v33, v18
	;; [unrolled: 1-line block ×5, first 2 shown]
	v_dual_add_f32 v53, v66, v57 :: v_dual_add_f32 v20, v80, v20
	v_dual_add_f32 v28, v83, v28 :: v_dual_add_f32 v5, v32, v5
	s_delay_alu instid0(VALU_DEP_3) | instskip(SKIP_3) | instid1(VALU_DEP_3)
	v_add_f32_e32 v31, v122, v40
	v_dual_add_f32 v40, v0, v12 :: v_dual_add_f32 v29, v118, v15
	v_dual_add_f32 v15, v125, v10 :: v_dual_add_f32 v10, v86, v11
	v_add_f32_e32 v12, v34, v4
	v_add_f32_e32 v22, v40, v25
	;; [unrolled: 1-line block ×3, first 2 shown]
	v_dual_add_f32 v41, v65, v56 :: v_dual_add_f32 v56, v107, v95
	v_add_f32_e32 v16, v126, v29
	v_add_f32_e32 v9, v116, v9
	s_delay_alu instid0(VALU_DEP_3) | instskip(NEXT) | instid1(VALU_DEP_4)
	v_dual_add_f32 v0, v84, v7 :: v_dual_add_f32 v21, v73, v41
	v_add_f32_e32 v41, v115, v56
	v_add_f32_e32 v13, v35, v6
	;; [unrolled: 1-line block ×3, first 2 shown]
	s_delay_alu instid0(VALU_DEP_3) | instskip(SKIP_1) | instid1(VALU_DEP_1)
	v_add_f32_e32 v32, v123, v41
	v_add_f32_e32 v1, v1, v17
	;; [unrolled: 1-line block ×9, first 2 shown]
	v_dual_add_f32 v21, v81, v21 :: v_dual_add_f32 v20, v130, v31
	s_delay_alu instid0(VALU_DEP_2) | instskip(SKIP_1) | instid1(VALU_DEP_3)
	v_dual_add_f32 v6, v90, v27 :: v_dual_add_f32 v5, v48, v5
	v_dual_add_f32 v17, v79, v14 :: v_dual_add_f32 v14, v124, v9
	v_add_f32_e32 v9, v89, v21
	s_delay_alu instid0(VALU_DEP_3) | instskip(NEXT) | instid1(VALU_DEP_3)
	v_dual_add_f32 v21, v131, v32 :: v_dual_add_f32 v4, v52, v5
	v_add_f32_e32 v11, v87, v17
	v_add_f32_e32 v17, v127, v30
	;; [unrolled: 1-line block ×3, first 2 shown]
	ds_store_2addr_b64 v47, v[14:15], v[16:17] offset0:34 offset1:51
	v_dual_add_f32 v14, v22, v26 :: v_dual_add_f32 v15, v24, v23
	ds_store_2addr_b64 v47, v[18:19], v[20:21] offset0:68 offset1:85
	ds_store_2addr_b64 v47, v[4:5], v[6:7] offset0:102 offset1:119
	;; [unrolled: 1-line block ×3, first 2 shown]
	ds_store_b64 v47, v[0:1] offset:1360
	ds_store_2addr_b64 v47, v[14:15], v[12:13] offset1:17
	global_wb scope:SCOPE_SE
	s_wait_dscnt 0x0
	s_barrier_signal -1
	s_barrier_wait -1
	global_inv scope:SCOPE_SE
	ds_load_2addr_b64 v[16:19], v45 offset0:59 offset1:246
	ds_load_2addr_b64 v[12:15], v46 offset0:49 offset1:236
	ds_load_b64 v[20:21], v42
	ds_load_b64 v[22:23], v44 offset:7480
	s_and_saveexec_b32 s1, s0
	s_cbranch_execz .LBB0_15
; %bb.14:
	v_add_nc_u32_e32 v0, 0x200, v44
	v_add_nc_u32_e32 v1, 0xe00, v44
	;; [unrolled: 1-line block ×3, first 2 shown]
	ds_load_2addr_b64 v[4:7], v0 offset0:38 offset1:225
	ds_load_2addr_b64 v[8:11], v1 offset0:28 offset1:215
	;; [unrolled: 1-line block ×3, first 2 shown]
.LBB0_15:
	s_wait_alu 0xfffe
	s_or_b32 exec_lo, exec_lo, s1
	v_mul_u32_u24_e32 v24, 5, v36
	s_delay_alu instid0(VALU_DEP_1)
	v_lshlrev_b32_e32 v32, 3, v24
	s_clause 0x2
	global_load_b128 v[24:27], v32, s[4:5] offset:1360
	global_load_b128 v[28:31], v32, s[4:5] offset:1376
	global_load_b64 v[32:33], v32, s[4:5] offset:1392
	v_add_nc_u32_e32 v35, 0x1600, v44
	v_add_nc_u32_e32 v34, 0xa00, v44
	global_wb scope:SCOPE_SE
	s_wait_loadcnt_dscnt 0x0
	s_barrier_signal -1
	s_barrier_wait -1
	global_inv scope:SCOPE_SE
	v_mul_f32_e32 v40, v25, v17
	v_dual_mul_f32 v25, v25, v16 :: v_dual_mul_f32 v46, v31, v15
	v_mul_f32_e32 v41, v27, v19
	v_mul_f32_e32 v27, v27, v18
	s_delay_alu instid0(VALU_DEP_4) | instskip(SKIP_2) | instid1(VALU_DEP_2)
	v_fma_f32 v16, v24, v16, -v40
	v_mul_f32_e32 v45, v29, v13
	v_mul_f32_e32 v29, v29, v12
	v_fma_f32 v12, v28, v12, -v45
	v_mul_f32_e32 v47, v33, v23
	s_delay_alu instid0(VALU_DEP_3)
	v_fmac_f32_e32 v29, v28, v13
	v_fmac_f32_e32 v27, v26, v19
	;; [unrolled: 1-line block ×3, first 2 shown]
	v_fma_f32 v17, v26, v18, -v41
	v_fma_f32 v13, v30, v14, -v46
	v_mul_f32_e32 v31, v31, v14
	v_fma_f32 v14, v32, v22, -v47
	v_add_f32_e32 v24, v16, v12
	s_delay_alu instid0(VALU_DEP_3) | instskip(NEXT) | instid1(VALU_DEP_3)
	v_dual_add_f32 v18, v17, v13 :: v_dual_fmac_f32 v31, v30, v15
	v_add_f32_e32 v26, v12, v14
	v_sub_f32_e32 v12, v12, v14
	s_delay_alu instid0(VALU_DEP_4)
	v_add_f32_e32 v14, v24, v14
	v_mul_f32_e32 v33, v33, v22
	v_add_f32_e32 v22, v21, v27
	v_fmac_f32_e32 v16, -0.5, v26
	v_dual_add_f32 v28, v25, v29 :: v_dual_sub_f32 v19, v27, v31
	v_add_f32_e32 v15, v20, v17
	v_fma_f32 v20, -0.5, v18, v20
	v_dual_add_f32 v18, v22, v31 :: v_dual_sub_f32 v17, v17, v13
	s_delay_alu instid0(VALU_DEP_3) | instskip(SKIP_2) | instid1(VALU_DEP_2)
	v_add_f32_e32 v15, v15, v13
	v_fmac_f32_e32 v33, v32, v23
	v_add_f32_e32 v23, v27, v31
	v_sub_f32_e32 v27, v29, v33
	v_add_f32_e32 v29, v29, v33
	s_delay_alu instid0(VALU_DEP_3) | instskip(SKIP_1) | instid1(VALU_DEP_3)
	v_fmac_f32_e32 v21, -0.5, v23
	v_fmamk_f32 v23, v19, 0x3f5db3d7, v20
	v_dual_fmac_f32 v20, 0xbf5db3d7, v19 :: v_dual_fmac_f32 v25, -0.5, v29
	s_delay_alu instid0(VALU_DEP_3) | instskip(SKIP_1) | instid1(VALU_DEP_3)
	v_fmamk_f32 v24, v17, 0xbf5db3d7, v21
	v_fmac_f32_e32 v21, 0x3f5db3d7, v17
	v_fmamk_f32 v19, v12, 0xbf5db3d7, v25
	v_dual_fmac_f32 v25, 0x3f5db3d7, v12 :: v_dual_add_f32 v12, v15, v14
	v_add_f32_e32 v22, v28, v33
	s_delay_alu instid0(VALU_DEP_3) | instskip(NEXT) | instid1(VALU_DEP_3)
	v_dual_mul_f32 v26, 0x3f5db3d7, v19 :: v_dual_fmamk_f32 v17, v27, 0x3f5db3d7, v16
	v_dual_fmac_f32 v16, 0xbf5db3d7, v27 :: v_dual_mul_f32 v29, -0.5, v25
	s_delay_alu instid0(VALU_DEP_2) | instskip(NEXT) | instid1(VALU_DEP_2)
	v_dual_add_f32 v13, v18, v22 :: v_dual_mul_f32 v28, 0xbf5db3d7, v17
	v_mul_f32_e32 v27, -0.5, v16
	s_delay_alu instid0(VALU_DEP_2) | instskip(NEXT) | instid1(VALU_DEP_2)
	v_dual_fmac_f32 v29, 0xbf5db3d7, v16 :: v_dual_fmac_f32 v28, 0.5, v19
	v_dual_fmac_f32 v27, 0x3f5db3d7, v25 :: v_dual_sub_f32 v14, v15, v14
	s_delay_alu instid0(VALU_DEP_1) | instskip(SKIP_1) | instid1(VALU_DEP_4)
	v_dual_sub_f32 v15, v18, v22 :: v_dual_add_f32 v18, v20, v27
	v_sub_f32_e32 v20, v20, v27
	v_dual_fmac_f32 v26, 0.5, v17 :: v_dual_add_f32 v17, v24, v28
	s_delay_alu instid0(VALU_DEP_1)
	v_add_f32_e32 v16, v23, v26
	v_dual_sub_f32 v22, v23, v26 :: v_dual_add_f32 v19, v21, v29
	v_sub_f32_e32 v23, v24, v28
	v_sub_f32_e32 v21, v21, v29
	ds_store_2addr_b64 v44, v[12:13], v[16:17] offset1:187
	ds_store_2addr_b64 v34, v[18:19], v[14:15] offset0:54 offset1:241
	ds_store_2addr_b64 v35, v[22:23], v[20:21] offset0:44 offset1:231
	s_and_saveexec_b32 s1, s0
	s_cbranch_execz .LBB0_17
; %bb.16:
	v_add_nc_u32_e32 v12, 0x66, v36
	v_add_nc_u32_e32 v13, 0xffffffab, v36
	s_delay_alu instid0(VALU_DEP_1) | instskip(SKIP_1) | instid1(VALU_DEP_2)
	v_cndmask_b32_e64 v12, v13, v12, s0
	v_mov_b32_e32 v13, 0
	v_mul_i32_i24_e32 v12, 5, v12
	s_delay_alu instid0(VALU_DEP_1) | instskip(NEXT) | instid1(VALU_DEP_1)
	v_lshlrev_b64_e32 v[12:13], 3, v[12:13]
	v_add_co_u32 v20, s0, s4, v12
	s_wait_alu 0xf1ff
	s_delay_alu instid0(VALU_DEP_2)
	v_add_co_ci_u32_e64 v21, s0, s5, v13, s0
	s_clause 0x2
	global_load_b128 v[12:15], v[20:21], off offset:1360
	global_load_b128 v[16:19], v[20:21], off offset:1376
	global_load_b64 v[20:21], v[20:21], off offset:1392
	v_add_nc_u32_e32 v22, 0x200, v44
	v_add_nc_u32_e32 v23, 0xe00, v44
	s_wait_loadcnt 0x2
	v_dual_mul_f32 v25, v9, v15 :: v_dual_add_nc_u32 v24, 0x1a00, v44
	v_mul_f32_e32 v15, v8, v15
	s_wait_loadcnt 0x1
	v_mul_f32_e32 v26, v1, v19
	v_mul_f32_e32 v28, v11, v17
	;; [unrolled: 1-line block ×3, first 2 shown]
	v_fma_f32 v8, v8, v14, -v25
	s_wait_loadcnt 0x0
	v_mul_f32_e32 v29, v3, v21
	v_mul_f32_e32 v21, v2, v21
	v_fmac_f32_e32 v17, v11, v16
	s_delay_alu instid0(VALU_DEP_2) | instskip(SKIP_4) | instid1(VALU_DEP_3)
	v_fmac_f32_e32 v21, v3, v20
	v_mul_f32_e32 v19, v0, v19
	v_fma_f32 v0, v0, v18, -v26
	v_fmac_f32_e32 v15, v9, v14
	v_mul_f32_e32 v27, v7, v13
	v_sub_f32_e32 v3, v8, v0
	v_mul_f32_e32 v13, v6, v13
	v_fmac_f32_e32 v19, v1, v18
	v_add_f32_e32 v14, v5, v15
	v_fma_f32 v1, v6, v12, -v27
	v_fma_f32 v6, v10, v16, -v28
	v_fmac_f32_e32 v13, v7, v12
	s_delay_alu instid0(VALU_DEP_1) | instskip(SKIP_4) | instid1(VALU_DEP_1)
	v_add_f32_e32 v16, v13, v17
	v_add_f32_e32 v12, v17, v21
	v_dual_sub_f32 v10, v17, v21 :: v_dual_add_f32 v17, v8, v0
	v_add_f32_e32 v8, v4, v8
	v_fma_f32 v2, v2, v20, -v29
	v_sub_f32_e32 v11, v6, v2
	v_add_f32_e32 v9, v6, v2
	v_add_f32_e32 v6, v1, v6
	s_delay_alu instid0(VALU_DEP_1) | instskip(NEXT) | instid1(VALU_DEP_1)
	v_dual_add_f32 v2, v6, v2 :: v_dual_add_f32 v7, v15, v19
	v_fma_f32 v18, -0.5, v7, v5
	s_delay_alu instid0(VALU_DEP_4)
	v_fma_f32 v5, -0.5, v9, v1
	v_fma_f32 v7, -0.5, v12, v13
	v_add_f32_e32 v12, v16, v21
	v_fma_f32 v13, -0.5, v17, v4
	v_add_f32_e32 v4, v8, v0
	v_fmamk_f32 v8, v10, 0xbf5db3d7, v5
	v_fmamk_f32 v6, v3, 0x3f5db3d7, v18
	v_fmac_f32_e32 v18, 0xbf5db3d7, v3
	v_sub_f32_e32 v15, v15, v19
	v_add_f32_e32 v9, v14, v19
	v_fmac_f32_e32 v5, 0x3f5db3d7, v10
	v_sub_f32_e32 v0, v4, v2
	v_add_f32_e32 v2, v4, v2
	v_fmamk_f32 v16, v15, 0xbf5db3d7, v13
	v_fmamk_f32 v14, v11, 0x3f5db3d7, v7
	s_delay_alu instid0(VALU_DEP_1) | instskip(NEXT) | instid1(VALU_DEP_1)
	v_dual_fmac_f32 v7, 0xbf5db3d7, v11 :: v_dual_mul_f32 v10, -0.5, v14
	v_fmac_f32_e32 v10, 0xbf5db3d7, v8
	v_fmac_f32_e32 v13, 0x3f5db3d7, v15
	v_mul_f32_e32 v15, -0.5, v8
	s_delay_alu instid0(VALU_DEP_1) | instskip(SKIP_2) | instid1(VALU_DEP_3)
	v_fmac_f32_e32 v15, 0x3f5db3d7, v14
	v_sub_f32_e32 v1, v9, v12
	v_dual_add_f32 v3, v9, v12 :: v_dual_mul_f32 v12, 0x3f5db3d7, v7
	v_dual_add_f32 v9, v6, v10 :: v_dual_add_f32 v8, v16, v15
	v_sub_f32_e32 v4, v16, v15
	s_delay_alu instid0(VALU_DEP_3) | instskip(SKIP_1) | instid1(VALU_DEP_2)
	v_fmac_f32_e32 v12, 0.5, v5
	v_mul_f32_e32 v11, 0xbf5db3d7, v5
	v_dual_sub_f32 v5, v6, v10 :: v_dual_add_f32 v10, v13, v12
	s_delay_alu instid0(VALU_DEP_2) | instskip(NEXT) | instid1(VALU_DEP_1)
	v_dual_fmac_f32 v11, 0.5, v7 :: v_dual_sub_f32 v6, v13, v12
	v_sub_f32_e32 v7, v18, v11
	v_add_f32_e32 v11, v18, v11
	ds_store_2addr_b64 v22, v[2:3], v[10:11] offset0:38 offset1:225
	ds_store_2addr_b64 v23, v[8:9], v[0:1] offset0:28 offset1:215
	;; [unrolled: 1-line block ×3, first 2 shown]
.LBB0_17:
	s_wait_alu 0xfffe
	s_or_b32 exec_lo, exec_lo, s1
	global_wb scope:SCOPE_SE
	s_wait_dscnt 0x0
	s_barrier_signal -1
	s_barrier_wait -1
	global_inv scope:SCOPE_SE
	ds_load_b64 v[0:1], v42
	v_sub_nc_u32_e32 v4, v37, v43
	s_mov_b32 s1, exec_lo
                                        ; implicit-def: $vgpr6
                                        ; implicit-def: $vgpr5
                                        ; implicit-def: $vgpr2_vgpr3
	v_cmpx_ne_u32_e32 0, v36
	s_wait_alu 0xfffe
	s_xor_b32 s1, exec_lo, s1
	s_cbranch_execz .LBB0_19
; %bb.18:
	ds_load_b64 v[5:6], v4 offset:8976
	s_wait_dscnt 0x0
	v_dual_mov_b32 v37, 0 :: v_dual_add_f32 v8, v6, v1
	s_delay_alu instid0(VALU_DEP_1) | instskip(SKIP_1) | instid1(VALU_DEP_1)
	v_lshlrev_b64_e32 v[2:3], 3, v[36:37]
	v_dual_sub_f32 v7, v0, v5 :: v_dual_add_f32 v0, v5, v0
	v_dual_sub_f32 v1, v1, v6 :: v_dual_mul_f32 v6, 0.5, v7
	s_delay_alu instid0(VALU_DEP_3) | instskip(SKIP_1) | instid1(VALU_DEP_4)
	v_add_co_u32 v2, s0, s4, v2
	s_wait_alu 0xf1ff
	v_add_co_ci_u32_e64 v3, s0, s5, v3, s0
	s_delay_alu instid0(VALU_DEP_3) | instskip(SKIP_3) | instid1(VALU_DEP_1)
	v_mul_f32_e32 v1, 0.5, v1
	global_load_b64 v[2:3], v[2:3], off offset:8840
	s_wait_loadcnt 0x0
	v_dual_mul_f32 v7, 0.5, v8 :: v_dual_mul_f32 v8, v3, v6
	v_fma_f32 v9, v7, v3, v1
	v_fma_f32 v1, v7, v3, -v1
	s_delay_alu instid0(VALU_DEP_3) | instskip(SKIP_1) | instid1(VALU_DEP_4)
	v_fma_f32 v5, 0.5, v0, v8
	v_fma_f32 v0, v0, 0.5, -v8
	v_fma_f32 v8, -v2, v6, v9
	s_delay_alu instid0(VALU_DEP_4)
	v_fma_f32 v1, -v2, v6, v1
	ds_store_b32 v42, v8 offset:4
	ds_store_b32 v4, v1 offset:8980
	v_fmac_f32_e32 v5, v2, v7
	v_fma_f32 v6, -v2, v7, v0
	v_dual_mov_b32 v2, v36 :: v_dual_mov_b32 v3, v37
                                        ; implicit-def: $vgpr0_vgpr1
                                        ; implicit-def: $vgpr37
.LBB0_19:
	s_wait_alu 0xfffe
	s_and_not1_saveexec_b32 s0, s1
	s_cbranch_execz .LBB0_21
; %bb.20:
	s_wait_dscnt 0x0
	v_dual_mov_b32 v2, 0 :: v_dual_add_f32 v5, v0, v1
	ds_store_b32 v42, v2 offset:4
	ds_store_b32 v4, v2 offset:8980
	ds_load_b32 v2, v37 offset:4492
	v_sub_f32_e32 v6, v0, v1
	s_wait_dscnt 0x0
	v_xor_b32_e32 v7, 0x80000000, v2
	v_mov_b32_e32 v2, 0
	v_mov_b32_e32 v3, 0
	ds_store_b32 v37, v7 offset:4492
.LBB0_21:
	s_wait_alu 0xfffe
	s_or_b32 exec_lo, exec_lo, s0
	s_wait_dscnt 0x0
	v_lshlrev_b64_e32 v[0:1], 3, v[2:3]
	s_add_nc_u64 s[0:1], s[4:5], 0x2288
	s_wait_alu 0xfffe
	s_delay_alu instid0(VALU_DEP_1) | instskip(SKIP_1) | instid1(VALU_DEP_2)
	v_add_co_u32 v2, s0, s0, v0
	s_wait_alu 0xf1ff
	v_add_co_ci_u32_e64 v3, s0, s1, v1, s0
	s_mov_b32 s1, exec_lo
	s_clause 0x3
	global_load_b64 v[7:8], v[2:3], off offset:816
	global_load_b64 v[9:10], v[2:3], off offset:1632
	;; [unrolled: 1-line block ×4, first 2 shown]
	ds_store_b32 v42, v5
	ds_store_b32 v4, v6 offset:8976
	ds_load_b64 v[5:6], v42 offset:816
	ds_load_b64 v[15:16], v4 offset:8160
	s_wait_dscnt 0x0
	v_dual_sub_f32 v17, v5, v15 :: v_dual_add_f32 v18, v6, v16
	v_dual_sub_f32 v6, v6, v16 :: v_dual_add_f32 v15, v5, v15
	s_delay_alu instid0(VALU_DEP_2) | instskip(SKIP_1) | instid1(VALU_DEP_1)
	v_dual_mul_f32 v16, 0.5, v17 :: v_dual_mul_f32 v17, 0.5, v18
	s_wait_loadcnt 0x3
	v_mul_f32_e32 v18, v8, v16
	s_delay_alu instid0(VALU_DEP_1) | instskip(SKIP_2) | instid1(VALU_DEP_3)
	v_fma_f32 v5, 0.5, v15, v18
	v_mul_f32_e32 v6, 0.5, v6
	v_fma_f32 v15, v15, 0.5, -v18
	v_fmac_f32_e32 v5, v7, v17
	s_delay_alu instid0(VALU_DEP_3) | instskip(SKIP_1) | instid1(VALU_DEP_2)
	v_fma_f32 v19, v17, v8, v6
	v_fma_f32 v8, v17, v8, -v6
	v_fma_f32 v6, -v7, v16, v19
	s_delay_alu instid0(VALU_DEP_2)
	v_fma_f32 v8, -v7, v16, v8
	v_fma_f32 v7, -v7, v17, v15
	ds_store_b64 v42, v[5:6] offset:816
	ds_store_b64 v4, v[7:8] offset:8160
	ds_load_b64 v[5:6], v42 offset:1632
	ds_load_b64 v[7:8], v4 offset:7344
	s_wait_dscnt 0x0
	v_dual_sub_f32 v15, v5, v7 :: v_dual_add_f32 v16, v6, v8
	v_dual_add_f32 v7, v5, v7 :: v_dual_sub_f32 v6, v6, v8
	s_delay_alu instid0(VALU_DEP_2) | instskip(SKIP_1) | instid1(VALU_DEP_1)
	v_dual_mul_f32 v8, 0.5, v15 :: v_dual_mul_f32 v15, 0.5, v16
	s_wait_loadcnt 0x2
	v_mul_f32_e32 v16, v10, v8
	s_delay_alu instid0(VALU_DEP_1) | instskip(SKIP_1) | instid1(VALU_DEP_2)
	v_fma_f32 v5, 0.5, v7, v16
	v_fma_f32 v7, v7, 0.5, -v16
	v_dual_fmac_f32 v5, v9, v15 :: v_dual_mul_f32 v6, 0.5, v6
	s_delay_alu instid0(VALU_DEP_2) | instskip(NEXT) | instid1(VALU_DEP_2)
	v_fma_f32 v7, -v9, v15, v7
	v_fma_f32 v17, v15, v10, v6
	v_fma_f32 v10, v15, v10, -v6
	s_delay_alu instid0(VALU_DEP_2) | instskip(NEXT) | instid1(VALU_DEP_2)
	v_fma_f32 v6, -v9, v8, v17
	v_fma_f32 v8, -v9, v8, v10
	ds_store_b64 v42, v[5:6] offset:1632
	ds_store_b64 v4, v[7:8] offset:7344
	ds_load_b64 v[5:6], v42 offset:2448
	ds_load_b64 v[7:8], v4 offset:6528
	s_wait_dscnt 0x0
	v_dual_sub_f32 v9, v5, v7 :: v_dual_add_f32 v10, v6, v8
	v_dual_add_f32 v7, v5, v7 :: v_dual_sub_f32 v6, v6, v8
	s_delay_alu instid0(VALU_DEP_2) | instskip(SKIP_1) | instid1(VALU_DEP_1)
	v_dual_mul_f32 v8, 0.5, v9 :: v_dual_mul_f32 v9, 0.5, v10
	s_wait_loadcnt 0x1
	v_mul_f32_e32 v10, v12, v8
	s_delay_alu instid0(VALU_DEP_1) | instskip(SKIP_1) | instid1(VALU_DEP_2)
	v_fma_f32 v5, 0.5, v7, v10
	v_fma_f32 v7, v7, 0.5, -v10
	v_dual_fmac_f32 v5, v11, v9 :: v_dual_mul_f32 v6, 0.5, v6
	s_delay_alu instid0(VALU_DEP_2) | instskip(NEXT) | instid1(VALU_DEP_2)
	v_fma_f32 v7, -v11, v9, v7
	v_fma_f32 v15, v9, v12, v6
	v_fma_f32 v12, v9, v12, -v6
	s_delay_alu instid0(VALU_DEP_2) | instskip(NEXT) | instid1(VALU_DEP_2)
	v_fma_f32 v6, -v11, v8, v15
	v_fma_f32 v8, -v11, v8, v12
	ds_store_b64 v42, v[5:6] offset:2448
	ds_store_b64 v4, v[7:8] offset:6528
	ds_load_b64 v[5:6], v42 offset:3264
	ds_load_b64 v[7:8], v4 offset:5712
	s_wait_dscnt 0x0
	v_sub_f32_e32 v9, v5, v7
	v_dual_add_f32 v7, v5, v7 :: v_dual_add_f32 v10, v6, v8
	v_sub_f32_e32 v6, v6, v8
	s_delay_alu instid0(VALU_DEP_2) | instskip(NEXT) | instid1(VALU_DEP_2)
	v_dual_mul_f32 v8, 0.5, v9 :: v_dual_mul_f32 v9, 0.5, v10
	v_mul_f32_e32 v6, 0.5, v6
	s_wait_loadcnt 0x0
	s_delay_alu instid0(VALU_DEP_2) | instskip(NEXT) | instid1(VALU_DEP_2)
	v_mul_f32_e32 v10, v14, v8
	v_fma_f32 v11, v9, v14, v6
	v_fma_f32 v12, v9, v14, -v6
	s_delay_alu instid0(VALU_DEP_3) | instskip(SKIP_1) | instid1(VALU_DEP_4)
	v_fma_f32 v5, 0.5, v7, v10
	v_fma_f32 v7, v7, 0.5, -v10
	v_fma_f32 v6, -v13, v8, v11
	s_delay_alu instid0(VALU_DEP_4) | instskip(NEXT) | instid1(VALU_DEP_4)
	v_fma_f32 v8, -v13, v8, v12
	v_fmac_f32_e32 v5, v13, v9
	s_delay_alu instid0(VALU_DEP_4)
	v_fma_f32 v7, -v13, v9, v7
	ds_store_b64 v42, v[5:6] offset:3264
	ds_store_b64 v4, v[7:8] offset:5712
	v_cmpx_gt_u32_e32 51, v36
	s_cbranch_execz .LBB0_23
; %bb.22:
	global_load_b64 v[2:3], v[2:3], off offset:4080
	ds_load_b64 v[5:6], v42 offset:4080
	ds_load_b64 v[7:8], v4 offset:4896
	s_wait_dscnt 0x0
	v_dual_sub_f32 v9, v5, v7 :: v_dual_add_f32 v10, v6, v8
	v_dual_sub_f32 v6, v6, v8 :: v_dual_add_f32 v7, v5, v7
	s_delay_alu instid0(VALU_DEP_2) | instskip(SKIP_1) | instid1(VALU_DEP_1)
	v_dual_mul_f32 v8, 0.5, v9 :: v_dual_mul_f32 v9, 0.5, v10
	s_wait_loadcnt 0x0
	v_mul_f32_e32 v10, v3, v8
	s_delay_alu instid0(VALU_DEP_1) | instskip(SKIP_2) | instid1(VALU_DEP_3)
	v_fma_f32 v5, 0.5, v7, v10
	v_mul_f32_e32 v6, 0.5, v6
	v_fma_f32 v7, v7, 0.5, -v10
	v_fmac_f32_e32 v5, v2, v9
	s_delay_alu instid0(VALU_DEP_3) | instskip(SKIP_1) | instid1(VALU_DEP_2)
	v_fma_f32 v11, v9, v3, v6
	v_fma_f32 v3, v9, v3, -v6
	v_fma_f32 v6, -v2, v8, v11
	s_delay_alu instid0(VALU_DEP_2)
	v_fma_f32 v3, -v2, v8, v3
	v_fma_f32 v2, -v2, v9, v7
	ds_store_b64 v42, v[5:6] offset:4080
	ds_store_b64 v4, v[2:3] offset:4896
.LBB0_23:
	s_wait_alu 0xfffe
	s_or_b32 exec_lo, exec_lo, s1
	global_wb scope:SCOPE_SE
	s_wait_dscnt 0x0
	s_barrier_signal -1
	s_barrier_wait -1
	global_inv scope:SCOPE_SE
	s_and_saveexec_b32 s0, vcc_lo
	s_cbranch_execz .LBB0_26
; %bb.24:
	v_add_nc_u32_e32 v2, 0x400, v42
	v_add_nc_u32_e32 v3, 0x800, v42
	;; [unrolled: 1-line block ×4, first 2 shown]
	ds_load_2addr_b64 v[4:7], v42 offset1:102
	ds_load_2addr_b64 v[8:11], v2 offset0:76 offset1:178
	ds_load_b64 v[24:25], v42 offset:8160
	ds_load_2addr_b64 v[12:15], v3 offset0:152 offset1:254
	ds_load_2addr_b64 v[16:19], v16 offset0:100 offset1:202
	;; [unrolled: 1-line block ×3, first 2 shown]
	v_add_co_u32 v2, vcc_lo, s8, v38
	s_wait_alu 0xfffd
	v_add_co_ci_u32_e32 v3, vcc_lo, s9, v39, vcc_lo
	s_delay_alu instid0(VALU_DEP_2) | instskip(SKIP_1) | instid1(VALU_DEP_2)
	v_add_co_u32 v0, vcc_lo, v2, v0
	s_wait_alu 0xfffd
	v_add_co_ci_u32_e32 v1, vcc_lo, v3, v1, vcc_lo
	v_cmp_eq_u32_e32 vcc_lo, 0x65, v36
	s_wait_dscnt 0x5
	s_clause 0x1
	global_store_b64 v[0:1], v[4:5], off
	global_store_b64 v[0:1], v[6:7], off offset:816
	s_wait_dscnt 0x4
	s_clause 0x1
	global_store_b64 v[0:1], v[8:9], off offset:1632
	global_store_b64 v[0:1], v[10:11], off offset:2448
	s_wait_dscnt 0x2
	s_clause 0x1
	global_store_b64 v[0:1], v[12:13], off offset:3264
	;; [unrolled: 4-line block ×4, first 2 shown]
	global_store_b64 v[0:1], v[22:23], off offset:7344
	global_store_b64 v[0:1], v[24:25], off offset:8160
	s_and_b32 exec_lo, exec_lo, vcc_lo
	s_cbranch_execz .LBB0_26
; %bb.25:
	ds_load_b64 v[0:1], v42 offset:8168
	s_wait_dscnt 0x0
	global_store_b64 v[2:3], v[0:1], off offset:8976
.LBB0_26:
	s_nop 0
	s_sendmsg sendmsg(MSG_DEALLOC_VGPRS)
	s_endpgm
	.section	.rodata,"a",@progbits
	.p2align	6, 0x0
	.amdhsa_kernel fft_rtc_fwd_len1122_factors_17_11_6_wgs_204_tpt_102_halfLds_sp_ip_CI_unitstride_sbrr_R2C_dirReg
		.amdhsa_group_segment_fixed_size 0
		.amdhsa_private_segment_fixed_size 0
		.amdhsa_kernarg_size 88
		.amdhsa_user_sgpr_count 2
		.amdhsa_user_sgpr_dispatch_ptr 0
		.amdhsa_user_sgpr_queue_ptr 0
		.amdhsa_user_sgpr_kernarg_segment_ptr 1
		.amdhsa_user_sgpr_dispatch_id 0
		.amdhsa_user_sgpr_private_segment_size 0
		.amdhsa_wavefront_size32 1
		.amdhsa_uses_dynamic_stack 0
		.amdhsa_enable_private_segment 0
		.amdhsa_system_sgpr_workgroup_id_x 1
		.amdhsa_system_sgpr_workgroup_id_y 0
		.amdhsa_system_sgpr_workgroup_id_z 0
		.amdhsa_system_sgpr_workgroup_info 0
		.amdhsa_system_vgpr_workitem_id 0
		.amdhsa_next_free_vgpr 166
		.amdhsa_next_free_sgpr 32
		.amdhsa_reserve_vcc 1
		.amdhsa_float_round_mode_32 0
		.amdhsa_float_round_mode_16_64 0
		.amdhsa_float_denorm_mode_32 3
		.amdhsa_float_denorm_mode_16_64 3
		.amdhsa_fp16_overflow 0
		.amdhsa_workgroup_processor_mode 1
		.amdhsa_memory_ordered 1
		.amdhsa_forward_progress 0
		.amdhsa_round_robin_scheduling 0
		.amdhsa_exception_fp_ieee_invalid_op 0
		.amdhsa_exception_fp_denorm_src 0
		.amdhsa_exception_fp_ieee_div_zero 0
		.amdhsa_exception_fp_ieee_overflow 0
		.amdhsa_exception_fp_ieee_underflow 0
		.amdhsa_exception_fp_ieee_inexact 0
		.amdhsa_exception_int_div_zero 0
	.end_amdhsa_kernel
	.text
.Lfunc_end0:
	.size	fft_rtc_fwd_len1122_factors_17_11_6_wgs_204_tpt_102_halfLds_sp_ip_CI_unitstride_sbrr_R2C_dirReg, .Lfunc_end0-fft_rtc_fwd_len1122_factors_17_11_6_wgs_204_tpt_102_halfLds_sp_ip_CI_unitstride_sbrr_R2C_dirReg
                                        ; -- End function
	.section	.AMDGPU.csdata,"",@progbits
; Kernel info:
; codeLenInByte = 12668
; NumSgprs: 34
; NumVgprs: 166
; ScratchSize: 0
; MemoryBound: 0
; FloatMode: 240
; IeeeMode: 1
; LDSByteSize: 0 bytes/workgroup (compile time only)
; SGPRBlocks: 4
; VGPRBlocks: 20
; NumSGPRsForWavesPerEU: 34
; NumVGPRsForWavesPerEU: 166
; Occupancy: 9
; WaveLimiterHint : 1
; COMPUTE_PGM_RSRC2:SCRATCH_EN: 0
; COMPUTE_PGM_RSRC2:USER_SGPR: 2
; COMPUTE_PGM_RSRC2:TRAP_HANDLER: 0
; COMPUTE_PGM_RSRC2:TGID_X_EN: 1
; COMPUTE_PGM_RSRC2:TGID_Y_EN: 0
; COMPUTE_PGM_RSRC2:TGID_Z_EN: 0
; COMPUTE_PGM_RSRC2:TIDIG_COMP_CNT: 0
	.text
	.p2alignl 7, 3214868480
	.fill 96, 4, 3214868480
	.type	__hip_cuid_a8f40f6d4edf38f1,@object ; @__hip_cuid_a8f40f6d4edf38f1
	.section	.bss,"aw",@nobits
	.globl	__hip_cuid_a8f40f6d4edf38f1
__hip_cuid_a8f40f6d4edf38f1:
	.byte	0                               ; 0x0
	.size	__hip_cuid_a8f40f6d4edf38f1, 1

	.ident	"AMD clang version 19.0.0git (https://github.com/RadeonOpenCompute/llvm-project roc-6.4.0 25133 c7fe45cf4b819c5991fe208aaa96edf142730f1d)"
	.section	".note.GNU-stack","",@progbits
	.addrsig
	.addrsig_sym __hip_cuid_a8f40f6d4edf38f1
	.amdgpu_metadata
---
amdhsa.kernels:
  - .args:
      - .actual_access:  read_only
        .address_space:  global
        .offset:         0
        .size:           8
        .value_kind:     global_buffer
      - .offset:         8
        .size:           8
        .value_kind:     by_value
      - .actual_access:  read_only
        .address_space:  global
        .offset:         16
        .size:           8
        .value_kind:     global_buffer
      - .actual_access:  read_only
        .address_space:  global
        .offset:         24
        .size:           8
        .value_kind:     global_buffer
      - .offset:         32
        .size:           8
        .value_kind:     by_value
      - .actual_access:  read_only
        .address_space:  global
        .offset:         40
        .size:           8
        .value_kind:     global_buffer
      - .actual_access:  read_only
        .address_space:  global
        .offset:         48
        .size:           8
        .value_kind:     global_buffer
      - .offset:         56
        .size:           4
        .value_kind:     by_value
      - .actual_access:  read_only
        .address_space:  global
        .offset:         64
        .size:           8
        .value_kind:     global_buffer
      - .actual_access:  read_only
        .address_space:  global
        .offset:         72
        .size:           8
        .value_kind:     global_buffer
      - .address_space:  global
        .offset:         80
        .size:           8
        .value_kind:     global_buffer
    .group_segment_fixed_size: 0
    .kernarg_segment_align: 8
    .kernarg_segment_size: 88
    .language:       OpenCL C
    .language_version:
      - 2
      - 0
    .max_flat_workgroup_size: 204
    .name:           fft_rtc_fwd_len1122_factors_17_11_6_wgs_204_tpt_102_halfLds_sp_ip_CI_unitstride_sbrr_R2C_dirReg
    .private_segment_fixed_size: 0
    .sgpr_count:     34
    .sgpr_spill_count: 0
    .symbol:         fft_rtc_fwd_len1122_factors_17_11_6_wgs_204_tpt_102_halfLds_sp_ip_CI_unitstride_sbrr_R2C_dirReg.kd
    .uniform_work_group_size: 1
    .uses_dynamic_stack: false
    .vgpr_count:     166
    .vgpr_spill_count: 0
    .wavefront_size: 32
    .workgroup_processor_mode: 1
amdhsa.target:   amdgcn-amd-amdhsa--gfx1201
amdhsa.version:
  - 1
  - 2
...

	.end_amdgpu_metadata
